;; amdgpu-corpus repo=ROCm/hip-tests kind=compiled arch=gfx1250 opt=O3
	.amdgcn_target "amdgcn-amd-amdhsa--gfx1250"
	.amdhsa_code_object_version 6
	.section	.text._ZL25kernel_cg_grid_group_typePiS_S_S_P4dim3,"axG",@progbits,_ZL25kernel_cg_grid_group_typePiS_S_S_P4dim3,comdat
	.globl	_ZL25kernel_cg_grid_group_typePiS_S_S_P4dim3 ; -- Begin function _ZL25kernel_cg_grid_group_typePiS_S_S_P4dim3
	.p2align	8
	.type	_ZL25kernel_cg_grid_group_typePiS_S_S_P4dim3,@function
_ZL25kernel_cg_grid_group_typePiS_S_S_P4dim3: ; @_ZL25kernel_cg_grid_group_typePiS_S_S_P4dim3
; %bb.0:
	s_bfe_u32 s2, ttmp6, 0x40010
	s_and_b32 s3, ttmp7, 0xffff
	s_add_co_i32 s2, s2, 1
	s_bfe_u32 s4, ttmp6, 0x40004
	s_mul_i32 s2, s3, s2
	s_getreg_b32 s5, hwreg(HW_REG_IB_STS2, 6, 4)
	s_add_co_i32 s4, s4, s2
	s_cmp_eq_u32 s5, 0
	s_clause 0x1
	s_load_b128 s[12:15], s[0:1], 0x28
	s_load_b32 s6, s[0:1], 0x38
	s_cselect_b32 s4, s3, s4
	s_bfe_u32 s3, ttmp6, 0x40014
	s_lshr_b32 s2, ttmp7, 16
	s_add_co_i32 s3, s3, 1
	s_bfe_u32 s7, ttmp6, 0x40008
	s_mul_i32 s3, s2, s3
	v_bfe_u32 v4, v0, 20, 10
	s_add_co_i32 s7, s7, s3
	s_cmp_eq_u32 s5, 0
	v_bfe_u32 v5, v0, 10, 10
	s_cselect_b32 s2, s2, s7
	s_bfe_u32 s3, ttmp6, 0x4000c
	s_and_b32 s7, ttmp6, 15
	s_add_co_i32 s3, s3, 1
	v_and_b32_e32 v6, 0x3ff, v0
	s_mul_i32 s3, ttmp9, s3
	s_delay_alu instid0(SALU_CYCLE_1)
	s_add_co_i32 s7, s7, s3
	s_cmp_eq_u32 s5, 0
	s_wait_kmcnt 0x0
	s_mul_i32 s5, s13, s2
	s_cselect_b32 s16, ttmp9, s7
	s_and_b32 s17, s6, 0xffff
	s_lshr_b32 s18, s15, 16
	s_cmp_lt_u32 s16, s12
	s_mov_b32 s3, 0
	s_cselect_b32 s2, 12, 18
	s_add_co_i32 s4, s5, s4
	s_and_b32 s15, s15, 0xffff
	s_mul_i32 s6, s4, s12
	s_add_nc_u64 s[4:5], s[0:1], 40
	s_add_co_i32 s6, s6, s16
	s_add_nc_u64 s[2:3], s[4:5], s[2:3]
	v_mad_u32 v1, s6, s17, v4
	s_load_u16 s2, s[2:3], 0x0
	s_wait_xcnt 0x0
	s_mul_i32 s3, s14, s17
	s_load_b256 s[4:11], s[0:1], 0x0
	s_mul_i32 s3, s3, s13
	v_mad_u32 v0, s16, s15, v6
	s_mul_i32 s3, s3, s18
	s_delay_alu instid0(SALU_CYCLE_1) | instskip(NEXT) | instid1(VALU_DEP_2)
	s_mul_i32 s3, s3, s12
	v_mad_u32 v1, v1, s18, v5
	s_wait_kmcnt 0x0
	s_delay_alu instid0(VALU_DEP_1) | instskip(SKIP_1) | instid1(SALU_CYCLE_1)
	v_mad_u32 v1, v1, s2, v6
	s_mul_i32 s2, s3, s2
	v_mov_b32_e32 v2, s2
	s_get_pc_i64 s[2:3]
	s_add_nc_u64 s[2:3], s[2:3], _ZL2gm.0@rel64+4
	s_clause 0x1
	global_store_b32 v0, v2, s[4:5] scale_offset
	global_store_b32 v0, v1, s[6:7] scale_offset
	s_wait_xcnt 0x1
	s_load_b64 s[4:5], s[0:1], 0x80
	v_or_b32_e32 v1, s16, v6
	v_mov_b64_e32 v[2:3], s[2:3]
	s_delay_alu instid0(VALU_DEP_2) | instskip(SKIP_3) | instid1(SALU_CYCLE_1)
	v_cmp_eq_u32_e64 s6, 0, v1
	s_wait_kmcnt 0x0
	s_cmp_lg_u64 s[4:5], 0
	s_cselect_b32 s7, -1, 0
	v_cndmask_b32_e64 v7, 0, 1, s7
	s_mov_b32 s7, exec_lo
	global_store_b32 v0, v7, s[8:9] scale_offset
	s_wait_xcnt 0x0
	v_cmpx_ne_u32_e32 0, v1
; %bb.1:
	v_cmp_eq_u32_e32 vcc_lo, 0, v6
	s_cmp_eq_u32 s16, 1
	s_get_pc_i64 s[8:9]
	s_add_nc_u64 s[8:9], s[8:9], _ZL2gm.1@rel64+4
	s_cselect_b32 s15, -1, 0
	v_mov_b64_e32 v[2:3], s[8:9]
	s_and_b32 s15, s15, vcc_lo
	s_and_not1_b32 s6, s6, exec_lo
	s_and_b32 s8, s15, exec_lo
	s_delay_alu instid0(SALU_CYCLE_1)
	s_or_b32 s6, s6, s8
; %bb.2:
	s_or_b32 exec_lo, exec_lo, s7
	s_load_b64 s[0:1], s[0:1], 0x20
	v_ashrrev_i32_e32 v1, 31, v0
	s_and_saveexec_b32 s7, s6
	s_cbranch_execz .LBB0_4
; %bb.3:
	v_mov_b32_e32 v7, 1
	global_store_b8 v[2:3], v7, off
.LBB0_4:
	s_wait_xcnt 0x0
	s_or_b32 exec_lo, exec_lo, s7
	v_or3_b32 v2, v6, v5, v4
	s_mov_b32 s6, exec_lo
	s_wait_storecnt 0x0
	s_barrier_signal -1
	s_barrier_wait -1
	v_cmpx_eq_u32_e32 0, v2
	s_cbranch_execz .LBB0_14
; %bb.5:
	v_mov_b32_e32 v4, 0
	global_wb scope:SCOPE_DEV
	s_wait_storecnt 0x0
	s_mov_b32 s7, exec_lo
	s_mov_b32 s8, exec_lo
	global_load_b32 v2, v4, s[4:5] offset:40
	v_mbcnt_lo_u32_b32 v3, s7, 0
                                        ; implicit-def: $vgpr5
	s_wait_xcnt 0x0
	s_delay_alu instid0(VALU_DEP_1)
	v_cmpx_eq_u32_e32 0, v3
	s_cbranch_execz .LBB0_7
; %bb.6:
	s_bcnt1_i32_b32 s7, s7
	s_delay_alu instid0(SALU_CYCLE_1)
	v_mov_b32_e32 v5, s7
	global_atomic_add_u32 v5, v4, v5, s[4:5] offset:32 th:TH_ATOMIC_RETURN scope:SCOPE_DEV
.LBB0_7:
	s_wait_xcnt 0x0
	s_or_b32 exec_lo, exec_lo, s8
	s_wait_loadcnt 0x0
	v_readfirstlane_b32 s7, v5
	s_delay_alu instid0(VALU_DEP_1) | instskip(SKIP_1) | instid1(VALU_DEP_1)
	v_dual_add_nc_u32 v5, -1, v2 :: v_dual_add_nc_u32 v3, s7, v3
	s_mov_b32 s7, exec_lo
	v_and_b32_e32 v4, 0xffff, v3
	s_delay_alu instid0(VALU_DEP_1)
	v_cmpx_eq_u32_e64 v4, v5
	s_cbranch_execz .LBB0_10
; %bb.8:
	s_mov_b32 s8, exec_lo
	s_delay_alu instid0(SALU_CYCLE_1) | instskip(NEXT) | instid1(VALU_DEP_1)
	v_mbcnt_lo_u32_b32 v4, s8, 0
	v_cmp_eq_u32_e32 vcc_lo, 0, v4
	s_and_b32 s9, exec_lo, vcc_lo
	s_delay_alu instid0(SALU_CYCLE_1)
	s_mov_b32 exec_lo, s9
	s_cbranch_execz .LBB0_10
; %bb.9:
	v_sub_nc_u32_e32 v2, 0x10000, v2
	s_bcnt1_i32_b32 s8, s8
	v_mov_b32_e32 v4, 0
	s_delay_alu instid0(VALU_DEP_2)
	v_mul_lo_u32 v2, v2, s8
	global_atomic_add_u32 v4, v2, s[4:5] offset:32 scope:SCOPE_DEV
.LBB0_10:
	s_wait_xcnt 0x0
	s_or_b32 exec_lo, exec_lo, s7
	v_mov_b32_e32 v2, 0
	v_and_b32_e32 v3, 0xffff0000, v3
	global_load_b32 v4, v2, s[4:5] offset:32 scope:SCOPE_DEV
	s_wait_loadcnt 0x0
	v_and_b32_e32 v4, 0xffff0000, v4
	s_delay_alu instid0(VALU_DEP_1)
	v_cmp_eq_u32_e32 vcc_lo, v4, v3
	s_wait_xcnt 0x0
	s_and_b32 exec_lo, exec_lo, vcc_lo
	s_cbranch_execz .LBB0_13
; %bb.11:
	s_mov_b32 s7, 0
.LBB0_12:                               ; =>This Inner Loop Header: Depth=1
	s_sleep 1
	global_load_b32 v4, v2, s[4:5] offset:32 scope:SCOPE_DEV
	s_wait_loadcnt 0x0
	v_and_b32_e32 v4, 0xffff0000, v4
	s_delay_alu instid0(VALU_DEP_1)
	v_cmp_ne_u32_e32 vcc_lo, v4, v3
	s_or_b32 s7, vcc_lo, s7
	s_wait_xcnt 0x0
	s_and_not1_b32 exec_lo, exec_lo, s7
	s_cbranch_execnz .LBB0_12
.LBB0_13:
	s_wait_storecnt 0x0
	global_inv scope:SCOPE_DEV
	s_wait_loadcnt 0x0
.LBB0_14:
	s_or_b32 exec_lo, exec_lo, s6
	v_mov_b32_e32 v2, 0
	s_get_pc_i64 s[4:5]
	s_add_nc_u64 s[4:5], s[4:5], _ZL2gm.1@rel64+4
	s_barrier_signal -1
	s_barrier_wait -1
	s_clause 0x1
	global_load_u8 v3, v2, s[4:5]
	global_load_u8 v4, v2, s[2:3]
	v_lshl_add_u64 v[6:7], v[0:1], 2, s[10:11]
	s_wait_loadcnt 0x1
	s_wait_xcnt 0x0
	v_and_b32_e32 v2, 1, v3
	s_wait_loadcnt 0x0
	v_dual_mov_b32 v4, s14 :: v_dual_bitop2_b32 v3, 1, v4 bitop3:0x40
	s_delay_alu instid0(VALU_DEP_2) | instskip(SKIP_1) | instid1(VALU_DEP_3)
	v_cmp_eq_u32_e32 vcc_lo, 1, v2
	v_cndmask_b32_e64 v2, 0, 20, vcc_lo
	v_cmp_eq_u32_e32 vcc_lo, 1, v3
	v_cndmask_b32_e64 v3, 0, 10, vcc_lo
	s_delay_alu instid0(VALU_DEP_1)
	v_mul_lo_u32 v5, v3, v2
	v_dual_mov_b32 v2, s12 :: v_dual_mov_b32 v3, s13
	global_store_b32 v[6:7], v5, off
	s_wait_kmcnt 0x0
	global_store_b96 v0, v[2:4], s[0:1] scale_offset
	s_endpgm
	.section	.rodata,"a",@progbits
	.p2align	6, 0x0
	.amdhsa_kernel _ZL25kernel_cg_grid_group_typePiS_S_S_P4dim3
		.amdhsa_group_segment_fixed_size 0
		.amdhsa_private_segment_fixed_size 0
		.amdhsa_kernarg_size 296
		.amdhsa_user_sgpr_count 2
		.amdhsa_user_sgpr_dispatch_ptr 0
		.amdhsa_user_sgpr_queue_ptr 0
		.amdhsa_user_sgpr_kernarg_segment_ptr 1
		.amdhsa_user_sgpr_dispatch_id 0
		.amdhsa_user_sgpr_kernarg_preload_length 0
		.amdhsa_user_sgpr_kernarg_preload_offset 0
		.amdhsa_user_sgpr_private_segment_size 0
		.amdhsa_wavefront_size32 1
		.amdhsa_uses_dynamic_stack 0
		.amdhsa_enable_private_segment 0
		.amdhsa_system_sgpr_workgroup_id_x 1
		.amdhsa_system_sgpr_workgroup_id_y 1
		.amdhsa_system_sgpr_workgroup_id_z 1
		.amdhsa_system_sgpr_workgroup_info 0
		.amdhsa_system_vgpr_workitem_id 2
		.amdhsa_next_free_vgpr 8
		.amdhsa_next_free_sgpr 19
		.amdhsa_named_barrier_count 0
		.amdhsa_reserve_vcc 1
		.amdhsa_float_round_mode_32 0
		.amdhsa_float_round_mode_16_64 0
		.amdhsa_float_denorm_mode_32 3
		.amdhsa_float_denorm_mode_16_64 3
		.amdhsa_fp16_overflow 0
		.amdhsa_memory_ordered 1
		.amdhsa_forward_progress 1
		.amdhsa_inst_pref_size 9
		.amdhsa_round_robin_scheduling 0
		.amdhsa_exception_fp_ieee_invalid_op 0
		.amdhsa_exception_fp_denorm_src 0
		.amdhsa_exception_fp_ieee_div_zero 0
		.amdhsa_exception_fp_ieee_overflow 0
		.amdhsa_exception_fp_ieee_underflow 0
		.amdhsa_exception_fp_ieee_inexact 0
		.amdhsa_exception_int_div_zero 0
	.end_amdhsa_kernel
	.section	.text._ZL25kernel_cg_grid_group_typePiS_S_S_P4dim3,"axG",@progbits,_ZL25kernel_cg_grid_group_typePiS_S_S_P4dim3,comdat
.Lfunc_end0:
	.size	_ZL25kernel_cg_grid_group_typePiS_S_S_P4dim3, .Lfunc_end0-_ZL25kernel_cg_grid_group_typePiS_S_S_P4dim3
                                        ; -- End function
	.set _ZL25kernel_cg_grid_group_typePiS_S_S_P4dim3.num_vgpr, 8
	.set _ZL25kernel_cg_grid_group_typePiS_S_S_P4dim3.num_agpr, 0
	.set _ZL25kernel_cg_grid_group_typePiS_S_S_P4dim3.numbered_sgpr, 19
	.set _ZL25kernel_cg_grid_group_typePiS_S_S_P4dim3.num_named_barrier, 0
	.set _ZL25kernel_cg_grid_group_typePiS_S_S_P4dim3.private_seg_size, 0
	.set _ZL25kernel_cg_grid_group_typePiS_S_S_P4dim3.uses_vcc, 1
	.set _ZL25kernel_cg_grid_group_typePiS_S_S_P4dim3.uses_flat_scratch, 0
	.set _ZL25kernel_cg_grid_group_typePiS_S_S_P4dim3.has_dyn_sized_stack, 0
	.set _ZL25kernel_cg_grid_group_typePiS_S_S_P4dim3.has_recursion, 0
	.set _ZL25kernel_cg_grid_group_typePiS_S_S_P4dim3.has_indirect_call, 0
	.section	.AMDGPU.csdata,"",@progbits
; Kernel info:
; codeLenInByte = 1108
; TotalNumSgprs: 21
; NumVgprs: 8
; ScratchSize: 0
; MemoryBound: 0
; FloatMode: 240
; IeeeMode: 1
; LDSByteSize: 0 bytes/workgroup (compile time only)
; SGPRBlocks: 0
; VGPRBlocks: 0
; NumSGPRsForWavesPerEU: 21
; NumVGPRsForWavesPerEU: 8
; NamedBarCnt: 0
; Occupancy: 16
; WaveLimiterHint : 0
; COMPUTE_PGM_RSRC2:SCRATCH_EN: 0
; COMPUTE_PGM_RSRC2:USER_SGPR: 2
; COMPUTE_PGM_RSRC2:TRAP_HANDLER: 0
; COMPUTE_PGM_RSRC2:TGID_X_EN: 1
; COMPUTE_PGM_RSRC2:TGID_Y_EN: 1
; COMPUTE_PGM_RSRC2:TGID_Z_EN: 1
; COMPUTE_PGM_RSRC2:TIDIG_COMP_CNT: 2
	.section	.text._ZL39kernel_cg_grid_group_type_via_base_typePiS_S_S_,"axG",@progbits,_ZL39kernel_cg_grid_group_type_via_base_typePiS_S_S_,comdat
	.globl	_ZL39kernel_cg_grid_group_type_via_base_typePiS_S_S_ ; -- Begin function _ZL39kernel_cg_grid_group_type_via_base_typePiS_S_S_
	.p2align	8
	.type	_ZL39kernel_cg_grid_group_type_via_base_typePiS_S_S_,@function
_ZL39kernel_cg_grid_group_type_via_base_typePiS_S_S_: ; @_ZL39kernel_cg_grid_group_type_via_base_typePiS_S_S_
; %bb.0:
	s_bfe_u32 s2, ttmp6, 0x40010
	s_and_b32 s3, ttmp7, 0xffff
	s_add_co_i32 s2, s2, 1
	s_bfe_u32 s4, ttmp6, 0x40004
	s_mul_i32 s2, s3, s2
	s_getreg_b32 s5, hwreg(HW_REG_IB_STS2, 6, 4)
	s_add_co_i32 s4, s4, s2
	s_cmp_eq_u32 s5, 0
	s_clause 0x1
	s_load_b128 s[12:15], s[0:1], 0x20
	s_load_b32 s6, s[0:1], 0x30
	s_cselect_b32 s4, s3, s4
	s_bfe_u32 s3, ttmp6, 0x40014
	s_lshr_b32 s2, ttmp7, 16
	s_add_co_i32 s3, s3, 1
	s_bfe_u32 s7, ttmp6, 0x40008
	s_mul_i32 s3, s2, s3
	v_bfe_u32 v1, v0, 20, 10
	s_add_co_i32 s7, s7, s3
	s_cmp_eq_u32 s5, 0
	v_bfe_u32 v4, v0, 10, 10
	s_cselect_b32 s2, s2, s7
	s_bfe_u32 s3, ttmp6, 0x4000c
	s_and_b32 s7, ttmp6, 15
	s_add_co_i32 s3, s3, 1
	v_and_b32_e32 v5, 0x3ff, v0
	s_mul_i32 s3, ttmp9, s3
	s_delay_alu instid0(SALU_CYCLE_1)
	s_add_co_i32 s7, s7, s3
	s_cmp_eq_u32 s5, 0
	s_wait_kmcnt 0x0
	s_mul_i32 s5, s13, s2
	s_cselect_b32 s16, ttmp9, s7
	s_and_b32 s17, s6, 0xffff
	s_lshr_b32 s18, s15, 16
	s_cmp_lt_u32 s16, s12
	s_mov_b32 s3, 0
	s_cselect_b32 s2, 12, 18
	s_add_co_i32 s4, s5, s4
	s_delay_alu instid0(SALU_CYCLE_1)
	s_mul_i32 s6, s4, s12
	s_add_nc_u64 s[4:5], s[0:1], 32
	s_add_co_i32 s6, s6, s16
	s_add_nc_u64 s[2:3], s[4:5], s[2:3]
	v_mad_u32 v2, s6, s17, v1
	s_load_u16 s2, s[2:3], 0x0
	s_wait_xcnt 0x0
	s_mul_i32 s3, s14, s17
	s_load_b256 s[4:11], s[0:1], 0x0
	s_mul_i32 s3, s3, s13
	s_and_b32 s13, s15, 0xffff
	s_mul_i32 s3, s3, s18
	v_mad_u32 v0, s16, s13, v5
	s_mul_i32 s3, s3, s12
	s_delay_alu instid0(VALU_DEP_2) | instskip(SKIP_1) | instid1(VALU_DEP_1)
	v_mad_u32 v2, v2, s18, v4
	s_wait_kmcnt 0x0
	v_mad_u32 v2, v2, s2, v5
	s_mul_i32 s2, s3, s2
	s_delay_alu instid0(SALU_CYCLE_1)
	v_mov_b32_e32 v3, s2
	s_clause 0x1
	global_store_b32 v0, v3, s[4:5] scale_offset
	global_store_b32 v0, v2, s[6:7] scale_offset
	s_load_b64 s[2:3], s[0:1], 0x78
	v_or_b32_e32 v2, s16, v5
	s_wait_xcnt 0x0
	s_get_pc_i64 s[0:1]
	s_add_nc_u64 s[0:1], s[0:1], _ZL2gm.0@rel64+4
	s_delay_alu instid0(VALU_DEP_1)
	v_cmp_eq_u32_e64 s4, 0, v2
	v_cmp_ne_u32_e32 vcc_lo, 0, v2
	v_mov_b64_e32 v[2:3], s[0:1]
	s_wait_kmcnt 0x0
	s_cmp_lg_u64 s[2:3], 0
	s_cselect_b32 s5, -1, 0
	s_delay_alu instid0(SALU_CYCLE_1)
	v_cndmask_b32_e64 v6, 0, 1, s5
	global_store_b32 v0, v6, s[8:9] scale_offset
	s_wait_xcnt 0x0
	s_and_saveexec_b32 s5, vcc_lo
; %bb.1:
	v_cmp_eq_u32_e32 vcc_lo, 0, v5
	s_cmp_eq_u32 s16, 1
	s_get_pc_i64 s[6:7]
	s_add_nc_u64 s[6:7], s[6:7], _ZL2gm.1@rel64+4
	s_cselect_b32 s8, -1, 0
	v_mov_b64_e32 v[2:3], s[6:7]
	s_and_b32 s8, s8, vcc_lo
	s_and_not1_b32 s4, s4, exec_lo
	s_and_b32 s6, s8, exec_lo
	s_delay_alu instid0(SALU_CYCLE_1)
	s_or_b32 s4, s4, s6
; %bb.2:
	s_or_b32 exec_lo, exec_lo, s5
	s_and_saveexec_b32 s5, s4
	s_cbranch_execz .LBB1_4
; %bb.3:
	v_mov_b32_e32 v6, 1
	global_store_b8 v[2:3], v6, off
.LBB1_4:
	s_wait_xcnt 0x0
	s_or_b32 exec_lo, exec_lo, s5
	v_or3_b32 v2, v4, v1, v5
	v_ashrrev_i32_e32 v1, 31, v0
	s_mov_b32 s4, exec_lo
	s_wait_storecnt 0x0
	s_barrier_signal -1
	s_barrier_wait -1
	v_cmpx_eq_u32_e32 0, v2
	s_cbranch_execz .LBB1_14
; %bb.5:
	v_mov_b32_e32 v4, 0
	global_wb scope:SCOPE_DEV
	s_wait_storecnt 0x0
	s_mov_b32 s5, exec_lo
	s_mov_b32 s6, exec_lo
	global_load_b32 v2, v4, s[2:3] offset:40
	v_mbcnt_lo_u32_b32 v3, s5, 0
                                        ; implicit-def: $vgpr5
	s_wait_xcnt 0x0
	s_delay_alu instid0(VALU_DEP_1)
	v_cmpx_eq_u32_e32 0, v3
	s_cbranch_execz .LBB1_7
; %bb.6:
	s_bcnt1_i32_b32 s5, s5
	s_delay_alu instid0(SALU_CYCLE_1)
	v_mov_b32_e32 v5, s5
	global_atomic_add_u32 v5, v4, v5, s[2:3] offset:32 th:TH_ATOMIC_RETURN scope:SCOPE_DEV
.LBB1_7:
	s_wait_xcnt 0x0
	s_or_b32 exec_lo, exec_lo, s6
	s_wait_loadcnt 0x0
	v_readfirstlane_b32 s5, v5
	s_delay_alu instid0(VALU_DEP_1) | instskip(SKIP_1) | instid1(VALU_DEP_1)
	v_dual_add_nc_u32 v5, -1, v2 :: v_dual_add_nc_u32 v3, s5, v3
	s_mov_b32 s5, exec_lo
	v_and_b32_e32 v4, 0xffff, v3
	s_delay_alu instid0(VALU_DEP_1)
	v_cmpx_eq_u32_e64 v4, v5
	s_cbranch_execz .LBB1_10
; %bb.8:
	s_mov_b32 s6, exec_lo
	s_delay_alu instid0(SALU_CYCLE_1) | instskip(NEXT) | instid1(VALU_DEP_1)
	v_mbcnt_lo_u32_b32 v4, s6, 0
	v_cmp_eq_u32_e32 vcc_lo, 0, v4
	s_and_b32 s7, exec_lo, vcc_lo
	s_delay_alu instid0(SALU_CYCLE_1)
	s_mov_b32 exec_lo, s7
	s_cbranch_execz .LBB1_10
; %bb.9:
	v_sub_nc_u32_e32 v2, 0x10000, v2
	s_bcnt1_i32_b32 s6, s6
	v_mov_b32_e32 v4, 0
	s_delay_alu instid0(VALU_DEP_2)
	v_mul_lo_u32 v2, v2, s6
	global_atomic_add_u32 v4, v2, s[2:3] offset:32 scope:SCOPE_DEV
.LBB1_10:
	s_wait_xcnt 0x0
	s_or_b32 exec_lo, exec_lo, s5
	v_mov_b32_e32 v2, 0
	v_and_b32_e32 v3, 0xffff0000, v3
	global_load_b32 v4, v2, s[2:3] offset:32 scope:SCOPE_DEV
	s_wait_loadcnt 0x0
	v_and_b32_e32 v4, 0xffff0000, v4
	s_delay_alu instid0(VALU_DEP_1)
	v_cmp_eq_u32_e32 vcc_lo, v4, v3
	s_wait_xcnt 0x0
	s_and_b32 exec_lo, exec_lo, vcc_lo
	s_cbranch_execz .LBB1_13
; %bb.11:
	s_mov_b32 s5, 0
.LBB1_12:                               ; =>This Inner Loop Header: Depth=1
	s_sleep 1
	global_load_b32 v4, v2, s[2:3] offset:32 scope:SCOPE_DEV
	s_wait_loadcnt 0x0
	v_and_b32_e32 v4, 0xffff0000, v4
	s_delay_alu instid0(VALU_DEP_1)
	v_cmp_ne_u32_e32 vcc_lo, v4, v3
	s_or_b32 s5, vcc_lo, s5
	s_wait_xcnt 0x0
	s_and_not1_b32 exec_lo, exec_lo, s5
	s_cbranch_execnz .LBB1_12
.LBB1_13:
	s_wait_storecnt 0x0
	global_inv scope:SCOPE_DEV
	s_wait_loadcnt 0x0
.LBB1_14:
	s_or_b32 exec_lo, exec_lo, s4
	v_mov_b32_e32 v2, 0
	s_get_pc_i64 s[2:3]
	s_add_nc_u64 s[2:3], s[2:3], _ZL2gm.1@rel64+4
	s_barrier_signal -1
	s_barrier_wait -1
	s_clause 0x1
	global_load_u8 v3, v2, s[2:3]
	global_load_u8 v4, v2, s[0:1]
	v_lshl_add_u64 v[0:1], v[0:1], 2, s[10:11]
	s_wait_loadcnt 0x1
	s_wait_xcnt 0x0
	v_and_b32_e32 v2, 1, v3
	s_wait_loadcnt 0x0
	v_and_b32_e32 v3, 1, v4
	s_delay_alu instid0(VALU_DEP_2) | instskip(SKIP_1) | instid1(VALU_DEP_3)
	v_cmp_eq_u32_e32 vcc_lo, 1, v2
	v_cndmask_b32_e64 v2, 0, 20, vcc_lo
	v_cmp_eq_u32_e32 vcc_lo, 1, v3
	v_cndmask_b32_e64 v3, 0, 10, vcc_lo
	s_delay_alu instid0(VALU_DEP_1)
	v_mul_lo_u32 v2, v3, v2
	global_store_b32 v[0:1], v2, off
	s_endpgm
	.section	.rodata,"a",@progbits
	.p2align	6, 0x0
	.amdhsa_kernel _ZL39kernel_cg_grid_group_type_via_base_typePiS_S_S_
		.amdhsa_group_segment_fixed_size 0
		.amdhsa_private_segment_fixed_size 0
		.amdhsa_kernarg_size 288
		.amdhsa_user_sgpr_count 2
		.amdhsa_user_sgpr_dispatch_ptr 0
		.amdhsa_user_sgpr_queue_ptr 0
		.amdhsa_user_sgpr_kernarg_segment_ptr 1
		.amdhsa_user_sgpr_dispatch_id 0
		.amdhsa_user_sgpr_kernarg_preload_length 0
		.amdhsa_user_sgpr_kernarg_preload_offset 0
		.amdhsa_user_sgpr_private_segment_size 0
		.amdhsa_wavefront_size32 1
		.amdhsa_uses_dynamic_stack 0
		.amdhsa_enable_private_segment 0
		.amdhsa_system_sgpr_workgroup_id_x 1
		.amdhsa_system_sgpr_workgroup_id_y 1
		.amdhsa_system_sgpr_workgroup_id_z 1
		.amdhsa_system_sgpr_workgroup_info 0
		.amdhsa_system_vgpr_workitem_id 2
		.amdhsa_next_free_vgpr 7
		.amdhsa_next_free_sgpr 19
		.amdhsa_named_barrier_count 0
		.amdhsa_reserve_vcc 1
		.amdhsa_float_round_mode_32 0
		.amdhsa_float_round_mode_16_64 0
		.amdhsa_float_denorm_mode_32 3
		.amdhsa_float_denorm_mode_16_64 3
		.amdhsa_fp16_overflow 0
		.amdhsa_memory_ordered 1
		.amdhsa_forward_progress 1
		.amdhsa_inst_pref_size 9
		.amdhsa_round_robin_scheduling 0
		.amdhsa_exception_fp_ieee_invalid_op 0
		.amdhsa_exception_fp_denorm_src 0
		.amdhsa_exception_fp_ieee_div_zero 0
		.amdhsa_exception_fp_ieee_overflow 0
		.amdhsa_exception_fp_ieee_underflow 0
		.amdhsa_exception_fp_ieee_inexact 0
		.amdhsa_exception_int_div_zero 0
	.end_amdhsa_kernel
	.section	.text._ZL39kernel_cg_grid_group_type_via_base_typePiS_S_S_,"axG",@progbits,_ZL39kernel_cg_grid_group_type_via_base_typePiS_S_S_,comdat
.Lfunc_end1:
	.size	_ZL39kernel_cg_grid_group_type_via_base_typePiS_S_S_, .Lfunc_end1-_ZL39kernel_cg_grid_group_type_via_base_typePiS_S_S_
                                        ; -- End function
	.set _ZL39kernel_cg_grid_group_type_via_base_typePiS_S_S_.num_vgpr, 7
	.set _ZL39kernel_cg_grid_group_type_via_base_typePiS_S_S_.num_agpr, 0
	.set _ZL39kernel_cg_grid_group_type_via_base_typePiS_S_S_.numbered_sgpr, 19
	.set _ZL39kernel_cg_grid_group_type_via_base_typePiS_S_S_.num_named_barrier, 0
	.set _ZL39kernel_cg_grid_group_type_via_base_typePiS_S_S_.private_seg_size, 0
	.set _ZL39kernel_cg_grid_group_type_via_base_typePiS_S_S_.uses_vcc, 1
	.set _ZL39kernel_cg_grid_group_type_via_base_typePiS_S_S_.uses_flat_scratch, 0
	.set _ZL39kernel_cg_grid_group_type_via_base_typePiS_S_S_.has_dyn_sized_stack, 0
	.set _ZL39kernel_cg_grid_group_type_via_base_typePiS_S_S_.has_recursion, 0
	.set _ZL39kernel_cg_grid_group_type_via_base_typePiS_S_S_.has_indirect_call, 0
	.section	.AMDGPU.csdata,"",@progbits
; Kernel info:
; codeLenInByte = 1076
; TotalNumSgprs: 21
; NumVgprs: 7
; ScratchSize: 0
; MemoryBound: 0
; FloatMode: 240
; IeeeMode: 1
; LDSByteSize: 0 bytes/workgroup (compile time only)
; SGPRBlocks: 0
; VGPRBlocks: 0
; NumSGPRsForWavesPerEU: 21
; NumVGPRsForWavesPerEU: 7
; NamedBarCnt: 0
; Occupancy: 16
; WaveLimiterHint : 0
; COMPUTE_PGM_RSRC2:SCRATCH_EN: 0
; COMPUTE_PGM_RSRC2:USER_SGPR: 2
; COMPUTE_PGM_RSRC2:TRAP_HANDLER: 0
; COMPUTE_PGM_RSRC2:TGID_X_EN: 1
; COMPUTE_PGM_RSRC2:TGID_Y_EN: 1
; COMPUTE_PGM_RSRC2:TGID_Z_EN: 1
; COMPUTE_PGM_RSRC2:TIDIG_COMP_CNT: 2
	.section	.text._ZL40kernel_cg_grid_group_type_via_public_apiPiS_S_S_P4dim3,"axG",@progbits,_ZL40kernel_cg_grid_group_type_via_public_apiPiS_S_S_P4dim3,comdat
	.globl	_ZL40kernel_cg_grid_group_type_via_public_apiPiS_S_S_P4dim3 ; -- Begin function _ZL40kernel_cg_grid_group_type_via_public_apiPiS_S_S_P4dim3
	.p2align	8
	.type	_ZL40kernel_cg_grid_group_type_via_public_apiPiS_S_S_P4dim3,@function
_ZL40kernel_cg_grid_group_type_via_public_apiPiS_S_S_P4dim3: ; @_ZL40kernel_cg_grid_group_type_via_public_apiPiS_S_S_P4dim3
; %bb.0:
	s_bfe_u32 s2, ttmp6, 0x40010
	s_and_b32 s3, ttmp7, 0xffff
	s_add_co_i32 s2, s2, 1
	s_bfe_u32 s4, ttmp6, 0x40004
	s_mul_i32 s2, s3, s2
	s_getreg_b32 s5, hwreg(HW_REG_IB_STS2, 6, 4)
	s_add_co_i32 s4, s4, s2
	s_cmp_eq_u32 s5, 0
	s_clause 0x1
	s_load_b128 s[12:15], s[0:1], 0x28
	s_load_b32 s6, s[0:1], 0x38
	s_cselect_b32 s4, s3, s4
	s_bfe_u32 s3, ttmp6, 0x40014
	s_lshr_b32 s2, ttmp7, 16
	s_add_co_i32 s3, s3, 1
	s_bfe_u32 s7, ttmp6, 0x40008
	s_mul_i32 s3, s2, s3
	v_bfe_u32 v4, v0, 20, 10
	s_add_co_i32 s7, s7, s3
	s_cmp_eq_u32 s5, 0
	v_bfe_u32 v5, v0, 10, 10
	s_cselect_b32 s2, s2, s7
	s_bfe_u32 s3, ttmp6, 0x4000c
	s_and_b32 s7, ttmp6, 15
	s_add_co_i32 s3, s3, 1
	v_and_b32_e32 v6, 0x3ff, v0
	s_mul_i32 s3, ttmp9, s3
	s_delay_alu instid0(SALU_CYCLE_1)
	s_add_co_i32 s7, s7, s3
	s_cmp_eq_u32 s5, 0
	s_wait_kmcnt 0x0
	s_mul_i32 s5, s13, s2
	s_cselect_b32 s16, ttmp9, s7
	s_and_b32 s17, s6, 0xffff
	s_lshr_b32 s18, s15, 16
	s_cmp_lt_u32 s16, s12
	s_mov_b32 s3, 0
	s_cselect_b32 s2, 12, 18
	s_add_co_i32 s4, s5, s4
	s_and_b32 s15, s15, 0xffff
	s_mul_i32 s6, s4, s12
	s_add_nc_u64 s[4:5], s[0:1], 40
	s_add_co_i32 s6, s6, s16
	s_add_nc_u64 s[2:3], s[4:5], s[2:3]
	v_mad_u32 v1, s6, s17, v4
	s_load_u16 s2, s[2:3], 0x0
	s_wait_xcnt 0x0
	s_mul_i32 s3, s14, s17
	s_load_b256 s[4:11], s[0:1], 0x0
	s_mul_i32 s3, s3, s13
	v_mad_u32 v0, s16, s15, v6
	s_mul_i32 s3, s3, s18
	s_delay_alu instid0(SALU_CYCLE_1) | instskip(NEXT) | instid1(VALU_DEP_2)
	s_mul_i32 s3, s3, s12
	v_mad_u32 v1, v1, s18, v5
	s_wait_kmcnt 0x0
	s_delay_alu instid0(VALU_DEP_1) | instskip(SKIP_1) | instid1(SALU_CYCLE_1)
	v_mad_u32 v1, v1, s2, v6
	s_mul_i32 s2, s3, s2
	v_mov_b32_e32 v2, s2
	s_get_pc_i64 s[2:3]
	s_add_nc_u64 s[2:3], s[2:3], _ZL2gm.0@rel64+4
	s_clause 0x1
	global_store_b32 v0, v2, s[4:5] scale_offset
	global_store_b32 v0, v1, s[6:7] scale_offset
	s_wait_xcnt 0x1
	s_load_b64 s[4:5], s[0:1], 0x80
	v_or_b32_e32 v1, s16, v6
	v_mov_b64_e32 v[2:3], s[2:3]
	s_delay_alu instid0(VALU_DEP_2) | instskip(SKIP_3) | instid1(SALU_CYCLE_1)
	v_cmp_eq_u32_e64 s6, 0, v1
	s_wait_kmcnt 0x0
	s_cmp_lg_u64 s[4:5], 0
	s_cselect_b32 s7, -1, 0
	v_cndmask_b32_e64 v7, 0, 1, s7
	s_mov_b32 s7, exec_lo
	global_store_b32 v0, v7, s[8:9] scale_offset
	s_wait_xcnt 0x0
	v_cmpx_ne_u32_e32 0, v1
; %bb.1:
	v_cmp_eq_u32_e32 vcc_lo, 0, v6
	s_cmp_eq_u32 s16, 1
	s_get_pc_i64 s[8:9]
	s_add_nc_u64 s[8:9], s[8:9], _ZL2gm.1@rel64+4
	s_cselect_b32 s15, -1, 0
	v_mov_b64_e32 v[2:3], s[8:9]
	s_and_b32 s15, s15, vcc_lo
	s_and_not1_b32 s6, s6, exec_lo
	s_and_b32 s8, s15, exec_lo
	s_delay_alu instid0(SALU_CYCLE_1)
	s_or_b32 s6, s6, s8
; %bb.2:
	s_or_b32 exec_lo, exec_lo, s7
	s_load_b64 s[0:1], s[0:1], 0x20
	v_ashrrev_i32_e32 v1, 31, v0
	s_and_saveexec_b32 s7, s6
	s_cbranch_execz .LBB2_4
; %bb.3:
	v_mov_b32_e32 v7, 1
	global_store_b8 v[2:3], v7, off
.LBB2_4:
	s_wait_xcnt 0x0
	s_or_b32 exec_lo, exec_lo, s7
	v_or3_b32 v2, v6, v5, v4
	s_mov_b32 s6, exec_lo
	s_wait_storecnt 0x0
	s_barrier_signal -1
	s_barrier_wait -1
	v_cmpx_eq_u32_e32 0, v2
	s_cbranch_execz .LBB2_14
; %bb.5:
	v_mov_b32_e32 v4, 0
	global_wb scope:SCOPE_DEV
	s_wait_storecnt 0x0
	s_mov_b32 s7, exec_lo
	s_mov_b32 s8, exec_lo
	global_load_b32 v2, v4, s[4:5] offset:40
	v_mbcnt_lo_u32_b32 v3, s7, 0
                                        ; implicit-def: $vgpr5
	s_wait_xcnt 0x0
	s_delay_alu instid0(VALU_DEP_1)
	v_cmpx_eq_u32_e32 0, v3
	s_cbranch_execz .LBB2_7
; %bb.6:
	s_bcnt1_i32_b32 s7, s7
	s_delay_alu instid0(SALU_CYCLE_1)
	v_mov_b32_e32 v5, s7
	global_atomic_add_u32 v5, v4, v5, s[4:5] offset:32 th:TH_ATOMIC_RETURN scope:SCOPE_DEV
.LBB2_7:
	s_wait_xcnt 0x0
	s_or_b32 exec_lo, exec_lo, s8
	s_wait_loadcnt 0x0
	v_readfirstlane_b32 s7, v5
	s_delay_alu instid0(VALU_DEP_1) | instskip(SKIP_1) | instid1(VALU_DEP_1)
	v_dual_add_nc_u32 v5, -1, v2 :: v_dual_add_nc_u32 v3, s7, v3
	s_mov_b32 s7, exec_lo
	v_and_b32_e32 v4, 0xffff, v3
	s_delay_alu instid0(VALU_DEP_1)
	v_cmpx_eq_u32_e64 v4, v5
	s_cbranch_execz .LBB2_10
; %bb.8:
	s_mov_b32 s8, exec_lo
	s_delay_alu instid0(SALU_CYCLE_1) | instskip(NEXT) | instid1(VALU_DEP_1)
	v_mbcnt_lo_u32_b32 v4, s8, 0
	v_cmp_eq_u32_e32 vcc_lo, 0, v4
	s_and_b32 s9, exec_lo, vcc_lo
	s_delay_alu instid0(SALU_CYCLE_1)
	s_mov_b32 exec_lo, s9
	s_cbranch_execz .LBB2_10
; %bb.9:
	v_sub_nc_u32_e32 v2, 0x10000, v2
	s_bcnt1_i32_b32 s8, s8
	v_mov_b32_e32 v4, 0
	s_delay_alu instid0(VALU_DEP_2)
	v_mul_lo_u32 v2, v2, s8
	global_atomic_add_u32 v4, v2, s[4:5] offset:32 scope:SCOPE_DEV
.LBB2_10:
	s_wait_xcnt 0x0
	s_or_b32 exec_lo, exec_lo, s7
	v_mov_b32_e32 v2, 0
	v_and_b32_e32 v3, 0xffff0000, v3
	global_load_b32 v4, v2, s[4:5] offset:32 scope:SCOPE_DEV
	s_wait_loadcnt 0x0
	v_and_b32_e32 v4, 0xffff0000, v4
	s_delay_alu instid0(VALU_DEP_1)
	v_cmp_eq_u32_e32 vcc_lo, v4, v3
	s_wait_xcnt 0x0
	s_and_b32 exec_lo, exec_lo, vcc_lo
	s_cbranch_execz .LBB2_13
; %bb.11:
	s_mov_b32 s7, 0
.LBB2_12:                               ; =>This Inner Loop Header: Depth=1
	s_sleep 1
	global_load_b32 v4, v2, s[4:5] offset:32 scope:SCOPE_DEV
	s_wait_loadcnt 0x0
	v_and_b32_e32 v4, 0xffff0000, v4
	s_delay_alu instid0(VALU_DEP_1)
	v_cmp_ne_u32_e32 vcc_lo, v4, v3
	s_or_b32 s7, vcc_lo, s7
	s_wait_xcnt 0x0
	s_and_not1_b32 exec_lo, exec_lo, s7
	s_cbranch_execnz .LBB2_12
.LBB2_13:
	s_wait_storecnt 0x0
	global_inv scope:SCOPE_DEV
	s_wait_loadcnt 0x0
.LBB2_14:
	s_or_b32 exec_lo, exec_lo, s6
	v_mov_b32_e32 v2, 0
	s_get_pc_i64 s[4:5]
	s_add_nc_u64 s[4:5], s[4:5], _ZL2gm.1@rel64+4
	s_barrier_signal -1
	s_barrier_wait -1
	s_clause 0x1
	global_load_u8 v3, v2, s[4:5]
	global_load_u8 v4, v2, s[2:3]
	v_lshl_add_u64 v[6:7], v[0:1], 2, s[10:11]
	s_wait_loadcnt 0x1
	s_wait_xcnt 0x0
	v_and_b32_e32 v2, 1, v3
	s_wait_loadcnt 0x0
	v_dual_mov_b32 v4, s14 :: v_dual_bitop2_b32 v3, 1, v4 bitop3:0x40
	s_delay_alu instid0(VALU_DEP_2) | instskip(SKIP_1) | instid1(VALU_DEP_3)
	v_cmp_eq_u32_e32 vcc_lo, 1, v2
	v_cndmask_b32_e64 v2, 0, 20, vcc_lo
	v_cmp_eq_u32_e32 vcc_lo, 1, v3
	v_cndmask_b32_e64 v3, 0, 10, vcc_lo
	s_delay_alu instid0(VALU_DEP_1)
	v_mul_lo_u32 v5, v3, v2
	v_dual_mov_b32 v2, s12 :: v_dual_mov_b32 v3, s13
	global_store_b32 v[6:7], v5, off
	s_wait_kmcnt 0x0
	global_store_b96 v0, v[2:4], s[0:1] scale_offset
	s_endpgm
	.section	.rodata,"a",@progbits
	.p2align	6, 0x0
	.amdhsa_kernel _ZL40kernel_cg_grid_group_type_via_public_apiPiS_S_S_P4dim3
		.amdhsa_group_segment_fixed_size 0
		.amdhsa_private_segment_fixed_size 0
		.amdhsa_kernarg_size 296
		.amdhsa_user_sgpr_count 2
		.amdhsa_user_sgpr_dispatch_ptr 0
		.amdhsa_user_sgpr_queue_ptr 0
		.amdhsa_user_sgpr_kernarg_segment_ptr 1
		.amdhsa_user_sgpr_dispatch_id 0
		.amdhsa_user_sgpr_kernarg_preload_length 0
		.amdhsa_user_sgpr_kernarg_preload_offset 0
		.amdhsa_user_sgpr_private_segment_size 0
		.amdhsa_wavefront_size32 1
		.amdhsa_uses_dynamic_stack 0
		.amdhsa_enable_private_segment 0
		.amdhsa_system_sgpr_workgroup_id_x 1
		.amdhsa_system_sgpr_workgroup_id_y 1
		.amdhsa_system_sgpr_workgroup_id_z 1
		.amdhsa_system_sgpr_workgroup_info 0
		.amdhsa_system_vgpr_workitem_id 2
		.amdhsa_next_free_vgpr 8
		.amdhsa_next_free_sgpr 19
		.amdhsa_named_barrier_count 0
		.amdhsa_reserve_vcc 1
		.amdhsa_float_round_mode_32 0
		.amdhsa_float_round_mode_16_64 0
		.amdhsa_float_denorm_mode_32 3
		.amdhsa_float_denorm_mode_16_64 3
		.amdhsa_fp16_overflow 0
		.amdhsa_memory_ordered 1
		.amdhsa_forward_progress 1
		.amdhsa_inst_pref_size 9
		.amdhsa_round_robin_scheduling 0
		.amdhsa_exception_fp_ieee_invalid_op 0
		.amdhsa_exception_fp_denorm_src 0
		.amdhsa_exception_fp_ieee_div_zero 0
		.amdhsa_exception_fp_ieee_overflow 0
		.amdhsa_exception_fp_ieee_underflow 0
		.amdhsa_exception_fp_ieee_inexact 0
		.amdhsa_exception_int_div_zero 0
	.end_amdhsa_kernel
	.section	.text._ZL40kernel_cg_grid_group_type_via_public_apiPiS_S_S_P4dim3,"axG",@progbits,_ZL40kernel_cg_grid_group_type_via_public_apiPiS_S_S_P4dim3,comdat
.Lfunc_end2:
	.size	_ZL40kernel_cg_grid_group_type_via_public_apiPiS_S_S_P4dim3, .Lfunc_end2-_ZL40kernel_cg_grid_group_type_via_public_apiPiS_S_S_P4dim3
                                        ; -- End function
	.set _ZL40kernel_cg_grid_group_type_via_public_apiPiS_S_S_P4dim3.num_vgpr, 8
	.set _ZL40kernel_cg_grid_group_type_via_public_apiPiS_S_S_P4dim3.num_agpr, 0
	.set _ZL40kernel_cg_grid_group_type_via_public_apiPiS_S_S_P4dim3.numbered_sgpr, 19
	.set _ZL40kernel_cg_grid_group_type_via_public_apiPiS_S_S_P4dim3.num_named_barrier, 0
	.set _ZL40kernel_cg_grid_group_type_via_public_apiPiS_S_S_P4dim3.private_seg_size, 0
	.set _ZL40kernel_cg_grid_group_type_via_public_apiPiS_S_S_P4dim3.uses_vcc, 1
	.set _ZL40kernel_cg_grid_group_type_via_public_apiPiS_S_S_P4dim3.uses_flat_scratch, 0
	.set _ZL40kernel_cg_grid_group_type_via_public_apiPiS_S_S_P4dim3.has_dyn_sized_stack, 0
	.set _ZL40kernel_cg_grid_group_type_via_public_apiPiS_S_S_P4dim3.has_recursion, 0
	.set _ZL40kernel_cg_grid_group_type_via_public_apiPiS_S_S_P4dim3.has_indirect_call, 0
	.section	.AMDGPU.csdata,"",@progbits
; Kernel info:
; codeLenInByte = 1108
; TotalNumSgprs: 21
; NumVgprs: 8
; ScratchSize: 0
; MemoryBound: 0
; FloatMode: 240
; IeeeMode: 1
; LDSByteSize: 0 bytes/workgroup (compile time only)
; SGPRBlocks: 0
; VGPRBlocks: 0
; NumSGPRsForWavesPerEU: 21
; NumVGPRsForWavesPerEU: 8
; NamedBarCnt: 0
; Occupancy: 16
; WaveLimiterHint : 0
; COMPUTE_PGM_RSRC2:SCRATCH_EN: 0
; COMPUTE_PGM_RSRC2:USER_SGPR: 2
; COMPUTE_PGM_RSRC2:TRAP_HANDLER: 0
; COMPUTE_PGM_RSRC2:TGID_X_EN: 1
; COMPUTE_PGM_RSRC2:TGID_Y_EN: 1
; COMPUTE_PGM_RSRC2:TGID_Z_EN: 1
; COMPUTE_PGM_RSRC2:TIDIG_COMP_CNT: 2
	.section	.text._ZL11coop_kernelPjS_jj,"axG",@progbits,_ZL11coop_kernelPjS_jj,comdat
	.globl	_ZL11coop_kernelPjS_jj          ; -- Begin function _ZL11coop_kernelPjS_jj
	.p2align	8
	.type	_ZL11coop_kernelPjS_jj,@function
_ZL11coop_kernelPjS_jj:                 ; @_ZL11coop_kernelPjS_jj
; %bb.0:
	s_load_b64 s[2:3], s[0:1], 0x10
	s_mov_b32 s9, 0
	s_wait_kmcnt 0x0
	s_cmp_eq_u32 s2, 0
	s_cbranch_scc1 .LBB3_29
; %bb.1:
	v_mov_b32_e32 v1, 0
	s_bfe_u32 s8, ttmp6, 0x4000c
	s_bfe_u32 s11, ttmp6, 0x40010
	s_and_b32 s10, ttmp7, 0xffff
	s_add_co_i32 s8, s8, 1
	global_load_b32 v2, v1, s[0:1] offset:38
	s_load_b96 s[4:6], s[0:1], 0x18
	s_add_co_i32 s11, s11, 1
	s_and_b32 s7, ttmp6, 15
	s_bfe_u32 s12, ttmp6, 0x40004
	s_mul_i32 s8, ttmp9, s8
	s_mul_i32 s11, s10, s11
	s_getreg_b32 s13, hwreg(HW_REG_IB_STS2, 6, 4)
	s_add_co_i32 s7, s7, s8
	s_add_co_i32 s12, s12, s11
	s_cmp_eq_u32 s13, 0
	v_bfe_u32 v5, v0, 20, 10
	s_cselect_b32 s14, s10, s12
	s_cselect_b32 s7, ttmp9, s7
	s_bfe_u32 s8, ttmp6, 0x40014
	s_lshr_b32 s10, ttmp7, 16
	s_add_co_i32 s8, s8, 1
	s_bfe_u32 s11, ttmp6, 0x40008
	s_mul_i32 s8, s10, s8
	v_bfe_u32 v6, v0, 10, 10
	s_add_co_i32 s11, s11, s8
	s_cmp_eq_u32 s13, 0
	s_cselect_b32 s15, s10, s11
	s_wait_kmcnt 0x0
	s_cmp_lt_u32 s7, s4
	s_add_nc_u64 s[10:11], s[0:1], 24
	s_cselect_b32 s8, 12, 18
	s_delay_alu instid0(SALU_CYCLE_1) | instskip(SKIP_4) | instid1(VALU_DEP_2)
	s_add_nc_u64 s[12:13], s[10:11], s[8:9]
	s_load_u16 s8, s[12:13], 0x0
	s_wait_loadcnt 0x0
	v_lshrrev_b32_e32 v3, 16, v2
	v_and_b32_e32 v2, 0xffff, v2
	v_mul_lo_u32 v4, s6, v3
	s_mul_i32 s6, s5, s15
	s_delay_alu instid0(SALU_CYCLE_1) | instskip(NEXT) | instid1(VALU_DEP_1)
	s_add_co_i32 s6, s6, s14
	v_mul_lo_u32 v4, v4, s5
	s_mul_i32 s5, s6, s4
	s_delay_alu instid0(SALU_CYCLE_1) | instskip(NEXT) | instid1(SALU_CYCLE_1)
	s_add_co_i32 s5, s5, s7
	v_mad_u32 v3, s5, v3, v5
	s_delay_alu instid0(VALU_DEP_2) | instskip(NEXT) | instid1(VALU_DEP_2)
	v_mul_lo_u32 v4, v4, v2
	v_mad_u32 v2, v3, v2, v6
	v_and_b32_e32 v3, 0x3ff, v0
	s_delay_alu instid0(VALU_DEP_3) | instskip(SKIP_2) | instid1(VALU_DEP_2)
	v_mul_lo_u32 v4, v4, s4
	s_load_b128 s[4:7], s[0:1], 0x0
	s_wait_kmcnt 0x0
	v_mad_u32 v0, v2, s8, v3
	v_or3_b32 v3, v3, v6, v5
	s_delay_alu instid0(VALU_DEP_1) | instskip(NEXT) | instid1(VALU_DEP_4)
	v_cmp_eq_u32_e64 s0, 0, v3
	v_mul_lo_u32 v2, v4, s8
	s_delay_alu instid0(VALU_DEP_4)
	v_xad_u32 v3, v0, -1, s3
	v_cmp_gt_u32_e32 vcc_lo, s3, v0
	s_branch .LBB3_4
.LBB3_2:                                ;   in Loop: Header=BB3_4 Depth=1
	s_wait_storecnt 0x0
	global_inv scope:SCOPE_DEV
	s_wait_loadcnt 0x0
.LBB3_3:                                ;   in Loop: Header=BB3_4 Depth=1
	s_or_b32 exec_lo, exec_lo, s8
	s_add_co_i32 s9, s9, 1
	s_barrier_signal -1
	s_cmp_eq_u32 s9, s2
	s_barrier_wait -1
	s_cbranch_scc1 .LBB3_29
.LBB3_4:                                ; =>This Loop Header: Depth=1
                                        ;     Child Loop BB3_6 Depth 2
                                        ;     Child Loop BB3_15 Depth 2
	;; [unrolled: 1-line block ×4, first 2 shown]
	s_and_saveexec_b32 s8, vcc_lo
	s_cbranch_execz .LBB3_7
; %bb.5:                                ;   in Loop: Header=BB3_4 Depth=1
	v_mov_b32_e32 v4, v0
	s_mov_b32 s12, 0
.LBB3_6:                                ;   Parent Loop BB3_4 Depth=1
                                        ; =>  This Inner Loop Header: Depth=2
	s_clause 0x1
	global_load_b32 v5, v4, s[4:5] scale_offset
	global_load_b32 v6, v4, s[6:7] scale_offset
	s_wait_loadcnt 0x0
	v_add_nc_u32_e32 v5, v6, v5
	global_store_b32 v4, v5, s[6:7] scale_offset
	s_wait_xcnt 0x0
	v_add_nc_u32_e32 v4, v4, v2
	s_delay_alu instid0(VALU_DEP_1) | instskip(SKIP_1) | instid1(SALU_CYCLE_1)
	v_cmp_le_u32_e64 s1, s3, v4
	s_or_b32 s12, s1, s12
	s_and_not1_b32 exec_lo, exec_lo, s12
	s_cbranch_execnz .LBB3_6
.LBB3_7:                                ;   in Loop: Header=BB3_4 Depth=1
	s_or_b32 exec_lo, exec_lo, s8
	s_wait_storecnt 0x0
	s_barrier_signal -1
	s_barrier_wait -1
	s_and_saveexec_b32 s8, s0
	s_cbranch_execz .LBB3_17
; %bb.8:                                ;   in Loop: Header=BB3_4 Depth=1
	global_wb scope:SCOPE_DEV
	s_wait_storecnt 0x0
	s_load_b64 s[12:13], s[10:11], 0x58
	s_mov_b32 s14, exec_lo
	s_mov_b32 s15, exec_lo
	v_mbcnt_lo_u32_b32 v5, s14, 0
                                        ; implicit-def: $vgpr6
	s_wait_kmcnt 0x0
	global_load_b32 v4, v1, s[12:13] offset:40
	s_wait_xcnt 0x0
	v_cmpx_eq_u32_e32 0, v5
	s_cbranch_execz .LBB3_10
; %bb.9:                                ;   in Loop: Header=BB3_4 Depth=1
	s_bcnt1_i32_b32 s1, s14
	s_delay_alu instid0(SALU_CYCLE_1)
	v_mov_b32_e32 v6, s1
	global_atomic_add_u32 v6, v1, v6, s[12:13] offset:32 th:TH_ATOMIC_RETURN scope:SCOPE_DEV
.LBB3_10:                               ;   in Loop: Header=BB3_4 Depth=1
	s_wait_xcnt 0x0
	s_or_b32 exec_lo, exec_lo, s15
	s_wait_loadcnt 0x0
	v_readfirstlane_b32 s1, v6
	s_mov_b32 s14, exec_lo
	v_dual_add_nc_u32 v7, -1, v4 :: v_dual_add_nc_u32 v5, s1, v5
	s_delay_alu instid0(VALU_DEP_1) | instskip(NEXT) | instid1(VALU_DEP_1)
	v_and_b32_e32 v6, 0xffff, v5
	v_cmpx_eq_u32_e64 v6, v7
	s_cbranch_execz .LBB3_13
; %bb.11:                               ;   in Loop: Header=BB3_4 Depth=1
	s_mov_b32 s15, exec_lo
	s_delay_alu instid0(SALU_CYCLE_1) | instskip(NEXT) | instid1(VALU_DEP_1)
	v_mbcnt_lo_u32_b32 v6, s15, 0
	v_cmp_eq_u32_e64 s1, 0, v6
	s_and_b32 s1, exec_lo, s1
	s_delay_alu instid0(SALU_CYCLE_1)
	s_mov_b32 exec_lo, s1
	s_cbranch_execz .LBB3_13
; %bb.12:                               ;   in Loop: Header=BB3_4 Depth=1
	v_sub_nc_u32_e32 v4, 0x10000, v4
	s_bcnt1_i32_b32 s1, s15
	s_delay_alu instid0(VALU_DEP_1) | instid1(SALU_CYCLE_1)
	v_mul_lo_u32 v4, v4, s1
	global_atomic_add_u32 v1, v4, s[12:13] offset:32 scope:SCOPE_DEV
.LBB3_13:                               ;   in Loop: Header=BB3_4 Depth=1
	s_wait_xcnt 0x0
	s_or_b32 exec_lo, exec_lo, s14
	global_load_b32 v6, v1, s[12:13] offset:32 scope:SCOPE_DEV
	v_and_b32_e32 v4, 0xffff0000, v5
	s_wait_loadcnt 0x0
	v_and_b32_e32 v5, 0xffff0000, v6
	s_delay_alu instid0(VALU_DEP_1)
	v_cmp_eq_u32_e64 s1, v5, v4
	s_wait_xcnt 0x0
	s_and_b32 exec_lo, exec_lo, s1
	s_cbranch_execz .LBB3_16
; %bb.14:                               ;   in Loop: Header=BB3_4 Depth=1
	s_mov_b32 s14, 0
.LBB3_15:                               ;   Parent Loop BB3_4 Depth=1
                                        ; =>  This Inner Loop Header: Depth=2
	s_sleep 1
	global_load_b32 v5, v1, s[12:13] offset:32 scope:SCOPE_DEV
	s_wait_loadcnt 0x0
	v_and_b32_e32 v5, 0xffff0000, v5
	s_delay_alu instid0(VALU_DEP_1)
	v_cmp_ne_u32_e64 s1, v5, v4
	s_or_b32 s14, s1, s14
	s_wait_xcnt 0x0
	s_and_not1_b32 exec_lo, exec_lo, s14
	s_cbranch_execnz .LBB3_15
.LBB3_16:                               ;   in Loop: Header=BB3_4 Depth=1
	s_wait_storecnt 0x0
	global_inv scope:SCOPE_DEV
	s_wait_loadcnt 0x0
.LBB3_17:                               ;   in Loop: Header=BB3_4 Depth=1
	s_or_b32 exec_lo, exec_lo, s8
	s_barrier_signal -1
	s_barrier_wait -1
	s_and_saveexec_b32 s8, vcc_lo
	s_cbranch_execz .LBB3_20
; %bb.18:                               ;   in Loop: Header=BB3_4 Depth=1
	v_dual_mov_b32 v4, v3 :: v_dual_mov_b32 v5, v0
	s_mov_b32 s12, 0
.LBB3_19:                               ;   Parent Loop BB3_4 Depth=1
                                        ; =>  This Inner Loop Header: Depth=2
	global_load_b32 v6, v4, s[6:7] scale_offset
	global_load_b32 v7, v5, s[4:5] scale_offset
	s_wait_xcnt 0x1
	v_sub_nc_u32_e32 v4, v4, v2
	s_wait_loadcnt 0x0
	v_add_nc_u32_e32 v6, v7, v6
	global_store_b32 v5, v6, s[4:5] scale_offset
	s_wait_xcnt 0x0
	v_add_nc_u32_e32 v5, v5, v2
	s_delay_alu instid0(VALU_DEP_1) | instskip(SKIP_1) | instid1(SALU_CYCLE_1)
	v_cmp_le_u32_e64 s1, s3, v5
	s_or_b32 s12, s1, s12
	s_and_not1_b32 exec_lo, exec_lo, s12
	s_cbranch_execnz .LBB3_19
.LBB3_20:                               ;   in Loop: Header=BB3_4 Depth=1
	s_or_b32 exec_lo, exec_lo, s8
	s_wait_storecnt 0x0
	s_barrier_signal -1
	s_barrier_wait -1
	s_and_saveexec_b32 s8, s0
	s_cbranch_execz .LBB3_3
; %bb.21:                               ;   in Loop: Header=BB3_4 Depth=1
	global_wb scope:SCOPE_DEV
	s_wait_storecnt 0x0
	s_load_b64 s[12:13], s[10:11], 0x58
	s_mov_b32 s14, exec_lo
	s_mov_b32 s15, exec_lo
	v_mbcnt_lo_u32_b32 v5, s14, 0
                                        ; implicit-def: $vgpr6
	s_wait_kmcnt 0x0
	global_load_b32 v4, v1, s[12:13] offset:40
	s_wait_xcnt 0x0
	v_cmpx_eq_u32_e32 0, v5
	s_cbranch_execz .LBB3_23
; %bb.22:                               ;   in Loop: Header=BB3_4 Depth=1
	s_bcnt1_i32_b32 s1, s14
	s_delay_alu instid0(SALU_CYCLE_1)
	v_mov_b32_e32 v6, s1
	global_atomic_add_u32 v6, v1, v6, s[12:13] offset:32 th:TH_ATOMIC_RETURN scope:SCOPE_DEV
.LBB3_23:                               ;   in Loop: Header=BB3_4 Depth=1
	s_wait_xcnt 0x0
	s_or_b32 exec_lo, exec_lo, s15
	s_wait_loadcnt 0x0
	v_readfirstlane_b32 s1, v6
	s_mov_b32 s14, exec_lo
	v_dual_add_nc_u32 v7, -1, v4 :: v_dual_add_nc_u32 v5, s1, v5
	s_delay_alu instid0(VALU_DEP_1) | instskip(NEXT) | instid1(VALU_DEP_1)
	v_and_b32_e32 v6, 0xffff, v5
	v_cmpx_eq_u32_e64 v6, v7
	s_cbranch_execz .LBB3_26
; %bb.24:                               ;   in Loop: Header=BB3_4 Depth=1
	s_mov_b32 s15, exec_lo
	s_delay_alu instid0(SALU_CYCLE_1) | instskip(NEXT) | instid1(VALU_DEP_1)
	v_mbcnt_lo_u32_b32 v6, s15, 0
	v_cmp_eq_u32_e64 s1, 0, v6
	s_and_b32 s1, exec_lo, s1
	s_delay_alu instid0(SALU_CYCLE_1)
	s_mov_b32 exec_lo, s1
	s_cbranch_execz .LBB3_26
; %bb.25:                               ;   in Loop: Header=BB3_4 Depth=1
	v_sub_nc_u32_e32 v4, 0x10000, v4
	s_bcnt1_i32_b32 s1, s15
	s_delay_alu instid0(VALU_DEP_1) | instid1(SALU_CYCLE_1)
	v_mul_lo_u32 v4, v4, s1
	global_atomic_add_u32 v1, v4, s[12:13] offset:32 scope:SCOPE_DEV
.LBB3_26:                               ;   in Loop: Header=BB3_4 Depth=1
	s_wait_xcnt 0x0
	s_or_b32 exec_lo, exec_lo, s14
	global_load_b32 v6, v1, s[12:13] offset:32 scope:SCOPE_DEV
	v_and_b32_e32 v4, 0xffff0000, v5
	s_wait_loadcnt 0x0
	v_and_b32_e32 v5, 0xffff0000, v6
	s_delay_alu instid0(VALU_DEP_1)
	v_cmp_eq_u32_e64 s1, v5, v4
	s_wait_xcnt 0x0
	s_and_b32 exec_lo, exec_lo, s1
	s_cbranch_execz .LBB3_2
; %bb.27:                               ;   in Loop: Header=BB3_4 Depth=1
	s_mov_b32 s14, 0
.LBB3_28:                               ;   Parent Loop BB3_4 Depth=1
                                        ; =>  This Inner Loop Header: Depth=2
	s_sleep 1
	global_load_b32 v5, v1, s[12:13] offset:32 scope:SCOPE_DEV
	s_wait_loadcnt 0x0
	v_and_b32_e32 v5, 0xffff0000, v5
	s_delay_alu instid0(VALU_DEP_1)
	v_cmp_ne_u32_e64 s1, v5, v4
	s_or_b32 s14, s1, s14
	s_wait_xcnt 0x0
	s_and_not1_b32 exec_lo, exec_lo, s14
	s_cbranch_execnz .LBB3_28
	s_branch .LBB3_2
.LBB3_29:
	s_endpgm
	.section	.rodata,"a",@progbits
	.p2align	6, 0x0
	.amdhsa_kernel _ZL11coop_kernelPjS_jj
		.amdhsa_group_segment_fixed_size 0
		.amdhsa_private_segment_fixed_size 0
		.amdhsa_kernarg_size 280
		.amdhsa_user_sgpr_count 2
		.amdhsa_user_sgpr_dispatch_ptr 0
		.amdhsa_user_sgpr_queue_ptr 0
		.amdhsa_user_sgpr_kernarg_segment_ptr 1
		.amdhsa_user_sgpr_dispatch_id 0
		.amdhsa_user_sgpr_kernarg_preload_length 0
		.amdhsa_user_sgpr_kernarg_preload_offset 0
		.amdhsa_user_sgpr_private_segment_size 0
		.amdhsa_wavefront_size32 1
		.amdhsa_uses_dynamic_stack 0
		.amdhsa_enable_private_segment 0
		.amdhsa_system_sgpr_workgroup_id_x 1
		.amdhsa_system_sgpr_workgroup_id_y 1
		.amdhsa_system_sgpr_workgroup_id_z 1
		.amdhsa_system_sgpr_workgroup_info 0
		.amdhsa_system_vgpr_workitem_id 2
		.amdhsa_next_free_vgpr 8
		.amdhsa_next_free_sgpr 16
		.amdhsa_named_barrier_count 0
		.amdhsa_reserve_vcc 1
		.amdhsa_float_round_mode_32 0
		.amdhsa_float_round_mode_16_64 0
		.amdhsa_float_denorm_mode_32 3
		.amdhsa_float_denorm_mode_16_64 3
		.amdhsa_fp16_overflow 0
		.amdhsa_memory_ordered 1
		.amdhsa_forward_progress 1
		.amdhsa_inst_pref_size 12
		.amdhsa_round_robin_scheduling 0
		.amdhsa_exception_fp_ieee_invalid_op 0
		.amdhsa_exception_fp_denorm_src 0
		.amdhsa_exception_fp_ieee_div_zero 0
		.amdhsa_exception_fp_ieee_overflow 0
		.amdhsa_exception_fp_ieee_underflow 0
		.amdhsa_exception_fp_ieee_inexact 0
		.amdhsa_exception_int_div_zero 0
	.end_amdhsa_kernel
	.section	.text._ZL11coop_kernelPjS_jj,"axG",@progbits,_ZL11coop_kernelPjS_jj,comdat
.Lfunc_end3:
	.size	_ZL11coop_kernelPjS_jj, .Lfunc_end3-_ZL11coop_kernelPjS_jj
                                        ; -- End function
	.set _ZL11coop_kernelPjS_jj.num_vgpr, 8
	.set _ZL11coop_kernelPjS_jj.num_agpr, 0
	.set _ZL11coop_kernelPjS_jj.numbered_sgpr, 16
	.set _ZL11coop_kernelPjS_jj.num_named_barrier, 0
	.set _ZL11coop_kernelPjS_jj.private_seg_size, 0
	.set _ZL11coop_kernelPjS_jj.uses_vcc, 1
	.set _ZL11coop_kernelPjS_jj.uses_flat_scratch, 0
	.set _ZL11coop_kernelPjS_jj.has_dyn_sized_stack, 0
	.set _ZL11coop_kernelPjS_jj.has_recursion, 0
	.set _ZL11coop_kernelPjS_jj.has_indirect_call, 0
	.section	.AMDGPU.csdata,"",@progbits
; Kernel info:
; codeLenInByte = 1412
; TotalNumSgprs: 18
; NumVgprs: 8
; ScratchSize: 0
; MemoryBound: 0
; FloatMode: 240
; IeeeMode: 1
; LDSByteSize: 0 bytes/workgroup (compile time only)
; SGPRBlocks: 0
; VGPRBlocks: 0
; NumSGPRsForWavesPerEU: 18
; NumVGPRsForWavesPerEU: 8
; NamedBarCnt: 0
; Occupancy: 16
; WaveLimiterHint : 0
; COMPUTE_PGM_RSRC2:SCRATCH_EN: 0
; COMPUTE_PGM_RSRC2:USER_SGPR: 2
; COMPUTE_PGM_RSRC2:TRAP_HANDLER: 0
; COMPUTE_PGM_RSRC2:TGID_X_EN: 1
; COMPUTE_PGM_RSRC2:TGID_Y_EN: 1
; COMPUTE_PGM_RSRC2:TGID_Z_EN: 1
; COMPUTE_PGM_RSRC2:TIDIG_COMP_CNT: 2
	.section	.text._ZL11test_kernelPjS_j,"axG",@progbits,_ZL11test_kernelPjS_j,comdat
	.globl	_ZL11test_kernelPjS_j           ; -- Begin function _ZL11test_kernelPjS_j
	.p2align	8
	.type	_ZL11test_kernelPjS_j,@function
_ZL11test_kernelPjS_j:                  ; @_ZL11test_kernelPjS_j
; %bb.0:
	s_load_b32 s14, s[0:1], 0x10
	s_mov_b32 s3, 0
	s_wait_kmcnt 0x0
	s_cmp_eq_u32 s14, 0
	s_cbranch_scc1 .LBB4_18
; %bb.1:
	v_mov_b32_e32 v1, 0
	s_bfe_u32 s4, ttmp6, 0x40010
	s_bfe_u32 s7, ttmp6, 0x4000c
	;; [unrolled: 1-line block ×3, first 2 shown]
	s_and_b32 s2, ttmp7, 0xffff
	global_load_b32 v2, v1, s[0:1] offset:38
	s_clause 0x1
	s_load_b64 s[10:11], s[0:1], 0x1c
	s_load_b32 s15, s[0:1], 0x18
	s_lshr_b32 s8, ttmp7, 16
	s_add_co_i32 s4, s4, 1
	s_add_co_i32 s7, s7, 1
	;; [unrolled: 1-line block ×3, first 2 shown]
	s_bfe_u32 s5, ttmp6, 0x40004
	s_and_b32 s6, ttmp6, 15
	s_bfe_u32 s12, ttmp6, 0x40008
	s_mul_i32 s4, s2, s4
	s_mul_i32 s7, ttmp9, s7
	s_mul_i32 s9, s8, s9
	s_getreg_b32 s13, hwreg(HW_REG_IB_STS2, 6, 4)
	s_add_co_i32 s5, s5, s4
	s_add_co_i32 s6, s6, s7
	;; [unrolled: 1-line block ×3, first 2 shown]
	s_cmp_eq_u32 s13, 0
	v_bfe_u32 v4, v0, 10, 10
	s_cselect_b32 s4, s8, s12
	s_cselect_b32 s2, s2, s5
	s_wait_kmcnt 0x0
	s_mul_i32 s4, s10, s4
	s_cselect_b32 s16, ttmp9, s6
	s_add_co_i32 s2, s4, s2
	s_add_nc_u64 s[8:9], s[0:1], 24
	s_mul_i32 s2, s2, s15
	s_delay_alu instid0(SALU_CYCLE_1)
	s_add_co_i32 s5, s2, s16
	s_wait_loadcnt 0x0
	v_readfirstlane_b32 s4, v2
	v_bfe_u32 v2, v0, 20, 10
	v_and_b32_e32 v0, 0x3ff, v0
	s_lshr_b32 s12, s4, 16
	s_and_b32 s13, s4, 0xffff
	s_cmp_lt_u32 s16, s15
	v_mad_u32 v3, s5, s12, v2
	s_cselect_b32 s2, 12, 18
	v_or3_b32 v2, v0, v4, v2
	s_add_nc_u64 s[4:5], s[8:9], s[2:3]
	s_load_u16 s2, s[4:5], 0x0
	s_wait_xcnt 0x0
	s_load_b128 s[4:7], s[0:1], 0x0
	s_wait_xcnt 0x0
	s_mul_i32 s0, s11, s12
	s_delay_alu instid0(SALU_CYCLE_1) | instskip(NEXT) | instid1(VALU_DEP_2)
	s_mul_i32 s0, s0, s10
	v_mad_u32 v3, v3, s13, v4
	s_mul_i32 s0, s0, s13
	s_delay_alu instid0(SALU_CYCLE_1) | instskip(SKIP_1) | instid1(VALU_DEP_1)
	s_mul_i32 s0, s0, s15
	s_wait_kmcnt 0x0
	v_mad_u32 v3, v3, s2, v0
	s_mul_i32 s1, s0, s2
	v_cmp_eq_u32_e64 s0, 0, v0
	s_add_co_i32 s2, s1, -1
	v_cmp_eq_u32_e64 s1, 0, v2
	v_mov_b32_e32 v0, -1
	v_cmp_eq_u32_e64 s2, s2, v3
	s_branch .LBB4_4
.LBB4_2:                                ;   in Loop: Header=BB4_4 Depth=1
	s_wait_storecnt 0x0
	global_inv scope:SCOPE_DEV
	s_wait_loadcnt 0x0
.LBB4_3:                                ;   in Loop: Header=BB4_4 Depth=1
	s_or_b32 exec_lo, exec_lo, s12
	s_add_co_i32 s3, s3, 1
	s_add_co_i32 s16, s16, s15
	s_cmp_eq_u32 s3, s14
	s_barrier_signal -1
	s_barrier_wait -1
	s_cbranch_scc1 .LBB4_18
.LBB4_4:                                ; =>This Loop Header: Depth=1
                                        ;     Child Loop BB4_6 Depth 2
                                        ;     Child Loop BB4_17 Depth 2
	s_delay_alu instid0(VALU_DEP_1)
	s_and_saveexec_b32 s17, s2
	s_cbranch_execz .LBB4_7
; %bb.5:                                ;   in Loop: Header=BB4_4 Depth=1
	s_mov_b64 s[10:11], 0
	s_get_shader_cycles_u64 s[12:13]
.LBB4_6:                                ;   Parent Loop BB4_4 Depth=1
                                        ; =>  This Inner Loop Header: Depth=2
	s_get_shader_cycles_u64 s[18:19]
	s_delay_alu instid0(SALU_CYCLE_1) | instskip(SKIP_4) | instid1(SALU_CYCLE_1)
	v_cmp_gt_i64_e64 s20, s[18:19], s[12:13]
	s_sub_nc_u64 s[12:13], s[18:19], s[12:13]
	s_and_b32 s20, s20, exec_lo
	s_cselect_b32 s13, s13, 0
	s_cselect_b32 s12, s12, 0
	s_add_nc_u64 s[10:11], s[12:13], s[10:11]
	s_delay_alu instid0(SALU_CYCLE_1)
	v_cmp_gt_i64_e64 s12, 0xf4240, s[10:11]
	s_and_b32 vcc_lo, exec_lo, s12
	s_mov_b64 s[12:13], s[18:19]
	s_cbranch_vccnz .LBB4_6
.LBB4_7:                                ;   in Loop: Header=BB4_4 Depth=1
	s_or_b32 exec_lo, exec_lo, s17
	s_and_saveexec_b32 s10, s0
	s_cbranch_execz .LBB4_9
; %bb.8:                                ;   in Loop: Header=BB4_4 Depth=1
	global_atomic_inc_u32 v2, v1, v0, s[4:5] th:TH_ATOMIC_RETURN scope:SCOPE_DEV
	v_mov_b32_e32 v3, s16
	s_wait_loadcnt 0x0
	global_store_b32 v3, v2, s[6:7] scale_offset
.LBB4_9:                                ;   in Loop: Header=BB4_4 Depth=1
	s_wait_xcnt 0x0
	s_or_b32 exec_lo, exec_lo, s10
	s_wait_storecnt 0x0
	s_barrier_signal -1
	s_barrier_wait -1
	s_and_saveexec_b32 s12, s1
	s_cbranch_execz .LBB4_3
; %bb.10:                               ;   in Loop: Header=BB4_4 Depth=1
	global_wb scope:SCOPE_DEV
	s_wait_storecnt 0x0
	s_load_b64 s[10:11], s[8:9], 0x58
	s_mov_b32 s13, exec_lo
	s_mov_b32 s17, exec_lo
	v_mbcnt_lo_u32_b32 v3, s13, 0
                                        ; implicit-def: $vgpr4
	s_wait_kmcnt 0x0
	global_load_b32 v2, v1, s[10:11] offset:40
	s_wait_xcnt 0x0
	v_cmpx_eq_u32_e32 0, v3
	s_cbranch_execz .LBB4_12
; %bb.11:                               ;   in Loop: Header=BB4_4 Depth=1
	s_bcnt1_i32_b32 s13, s13
	s_delay_alu instid0(SALU_CYCLE_1)
	v_mov_b32_e32 v4, s13
	global_atomic_add_u32 v4, v1, v4, s[10:11] offset:32 th:TH_ATOMIC_RETURN scope:SCOPE_DEV
.LBB4_12:                               ;   in Loop: Header=BB4_4 Depth=1
	s_wait_xcnt 0x0
	s_or_b32 exec_lo, exec_lo, s17
	s_wait_loadcnt 0x0
	v_readfirstlane_b32 s13, v4
	s_delay_alu instid0(VALU_DEP_1) | instskip(SKIP_1) | instid1(VALU_DEP_1)
	v_dual_add_nc_u32 v5, -1, v2 :: v_dual_add_nc_u32 v3, s13, v3
	s_mov_b32 s13, exec_lo
	v_and_b32_e32 v4, 0xffff, v3
	s_delay_alu instid0(VALU_DEP_1)
	v_cmpx_eq_u32_e64 v4, v5
	s_cbranch_execz .LBB4_15
; %bb.13:                               ;   in Loop: Header=BB4_4 Depth=1
	s_mov_b32 s17, exec_lo
	s_delay_alu instid0(SALU_CYCLE_1) | instskip(NEXT) | instid1(VALU_DEP_1)
	v_mbcnt_lo_u32_b32 v4, s17, 0
	v_cmp_eq_u32_e32 vcc_lo, 0, v4
	s_and_b32 s18, exec_lo, vcc_lo
	s_delay_alu instid0(SALU_CYCLE_1)
	s_mov_b32 exec_lo, s18
	s_cbranch_execz .LBB4_15
; %bb.14:                               ;   in Loop: Header=BB4_4 Depth=1
	v_sub_nc_u32_e32 v2, 0x10000, v2
	s_bcnt1_i32_b32 s17, s17
	s_delay_alu instid0(VALU_DEP_1) | instid1(SALU_CYCLE_1)
	v_mul_lo_u32 v2, v2, s17
	global_atomic_add_u32 v1, v2, s[10:11] offset:32 scope:SCOPE_DEV
.LBB4_15:                               ;   in Loop: Header=BB4_4 Depth=1
	s_wait_xcnt 0x0
	s_or_b32 exec_lo, exec_lo, s13
	global_load_b32 v4, v1, s[10:11] offset:32 scope:SCOPE_DEV
	v_and_b32_e32 v2, 0xffff0000, v3
	s_wait_loadcnt 0x0
	v_and_b32_e32 v3, 0xffff0000, v4
	s_delay_alu instid0(VALU_DEP_1)
	v_cmp_eq_u32_e32 vcc_lo, v3, v2
	s_wait_xcnt 0x0
	s_and_b32 exec_lo, exec_lo, vcc_lo
	s_cbranch_execz .LBB4_2
; %bb.16:                               ;   in Loop: Header=BB4_4 Depth=1
	s_mov_b32 s13, 0
.LBB4_17:                               ;   Parent Loop BB4_4 Depth=1
                                        ; =>  This Inner Loop Header: Depth=2
	s_sleep 1
	global_load_b32 v3, v1, s[10:11] offset:32 scope:SCOPE_DEV
	s_wait_loadcnt 0x0
	v_and_b32_e32 v3, 0xffff0000, v3
	s_delay_alu instid0(VALU_DEP_1)
	v_cmp_ne_u32_e32 vcc_lo, v3, v2
	s_or_b32 s13, vcc_lo, s13
	s_wait_xcnt 0x0
	s_and_not1_b32 exec_lo, exec_lo, s13
	s_cbranch_execnz .LBB4_17
	s_branch .LBB4_2
.LBB4_18:
	s_endpgm
	.section	.rodata,"a",@progbits
	.p2align	6, 0x0
	.amdhsa_kernel _ZL11test_kernelPjS_j
		.amdhsa_group_segment_fixed_size 0
		.amdhsa_private_segment_fixed_size 0
		.amdhsa_kernarg_size 280
		.amdhsa_user_sgpr_count 2
		.amdhsa_user_sgpr_dispatch_ptr 0
		.amdhsa_user_sgpr_queue_ptr 0
		.amdhsa_user_sgpr_kernarg_segment_ptr 1
		.amdhsa_user_sgpr_dispatch_id 0
		.amdhsa_user_sgpr_kernarg_preload_length 0
		.amdhsa_user_sgpr_kernarg_preload_offset 0
		.amdhsa_user_sgpr_private_segment_size 0
		.amdhsa_wavefront_size32 1
		.amdhsa_uses_dynamic_stack 0
		.amdhsa_enable_private_segment 0
		.amdhsa_system_sgpr_workgroup_id_x 1
		.amdhsa_system_sgpr_workgroup_id_y 1
		.amdhsa_system_sgpr_workgroup_id_z 1
		.amdhsa_system_sgpr_workgroup_info 0
		.amdhsa_system_vgpr_workitem_id 2
		.amdhsa_next_free_vgpr 6
		.amdhsa_next_free_sgpr 21
		.amdhsa_named_barrier_count 0
		.amdhsa_reserve_vcc 1
		.amdhsa_float_round_mode_32 0
		.amdhsa_float_round_mode_16_64 0
		.amdhsa_float_denorm_mode_32 3
		.amdhsa_float_denorm_mode_16_64 3
		.amdhsa_fp16_overflow 0
		.amdhsa_memory_ordered 1
		.amdhsa_forward_progress 1
		.amdhsa_inst_pref_size 8
		.amdhsa_round_robin_scheduling 0
		.amdhsa_exception_fp_ieee_invalid_op 0
		.amdhsa_exception_fp_denorm_src 0
		.amdhsa_exception_fp_ieee_div_zero 0
		.amdhsa_exception_fp_ieee_overflow 0
		.amdhsa_exception_fp_ieee_underflow 0
		.amdhsa_exception_fp_ieee_inexact 0
		.amdhsa_exception_int_div_zero 0
	.end_amdhsa_kernel
	.section	.text._ZL11test_kernelPjS_j,"axG",@progbits,_ZL11test_kernelPjS_j,comdat
.Lfunc_end4:
	.size	_ZL11test_kernelPjS_j, .Lfunc_end4-_ZL11test_kernelPjS_j
                                        ; -- End function
	.set _ZL11test_kernelPjS_j.num_vgpr, 6
	.set _ZL11test_kernelPjS_j.num_agpr, 0
	.set _ZL11test_kernelPjS_j.numbered_sgpr, 21
	.set _ZL11test_kernelPjS_j.num_named_barrier, 0
	.set _ZL11test_kernelPjS_j.private_seg_size, 0
	.set _ZL11test_kernelPjS_j.uses_vcc, 1
	.set _ZL11test_kernelPjS_j.uses_flat_scratch, 0
	.set _ZL11test_kernelPjS_j.has_dyn_sized_stack, 0
	.set _ZL11test_kernelPjS_j.has_recursion, 0
	.set _ZL11test_kernelPjS_j.has_indirect_call, 0
	.section	.AMDGPU.csdata,"",@progbits
; Kernel info:
; codeLenInByte = 932
; TotalNumSgprs: 23
; NumVgprs: 6
; ScratchSize: 0
; MemoryBound: 0
; FloatMode: 240
; IeeeMode: 1
; LDSByteSize: 0 bytes/workgroup (compile time only)
; SGPRBlocks: 0
; VGPRBlocks: 0
; NumSGPRsForWavesPerEU: 23
; NumVGPRsForWavesPerEU: 6
; NamedBarCnt: 0
; Occupancy: 16
; WaveLimiterHint : 0
; COMPUTE_PGM_RSRC2:SCRATCH_EN: 0
; COMPUTE_PGM_RSRC2:USER_SGPR: 2
; COMPUTE_PGM_RSRC2:TRAP_HANDLER: 0
; COMPUTE_PGM_RSRC2:TGID_X_EN: 1
; COMPUTE_PGM_RSRC2:TGID_Y_EN: 1
; COMPUTE_PGM_RSRC2:TGID_Z_EN: 1
; COMPUTE_PGM_RSRC2:TIDIG_COMP_CNT: 2
	.text
	.protected	_Z17test_kernel_gfx11PjS_j ; -- Begin function _Z17test_kernel_gfx11PjS_j
	.globl	_Z17test_kernel_gfx11PjS_j
	.p2align	8
	.type	_Z17test_kernel_gfx11PjS_j,@function
_Z17test_kernel_gfx11PjS_j:             ; @_Z17test_kernel_gfx11PjS_j
; %bb.0:
	s_load_b32 s14, s[0:1], 0x10
	s_mov_b32 s3, 0
	s_wait_kmcnt 0x0
	s_cmp_eq_u32 s14, 0
	s_cbranch_scc1 .LBB5_18
; %bb.1:
	v_mov_b32_e32 v1, 0
	s_bfe_u32 s4, ttmp6, 0x40010
	s_bfe_u32 s7, ttmp6, 0x4000c
	;; [unrolled: 1-line block ×3, first 2 shown]
	s_and_b32 s2, ttmp7, 0xffff
	global_load_b32 v2, v1, s[0:1] offset:38
	s_clause 0x1
	s_load_b64 s[10:11], s[0:1], 0x1c
	s_load_b32 s15, s[0:1], 0x18
	s_lshr_b32 s8, ttmp7, 16
	s_add_co_i32 s4, s4, 1
	s_add_co_i32 s7, s7, 1
	s_add_co_i32 s9, s9, 1
	s_bfe_u32 s5, ttmp6, 0x40004
	s_and_b32 s6, ttmp6, 15
	s_bfe_u32 s12, ttmp6, 0x40008
	s_mul_i32 s4, s2, s4
	s_mul_i32 s7, ttmp9, s7
	s_mul_i32 s9, s8, s9
	s_getreg_b32 s13, hwreg(HW_REG_IB_STS2, 6, 4)
	s_add_co_i32 s5, s5, s4
	s_add_co_i32 s6, s6, s7
	;; [unrolled: 1-line block ×3, first 2 shown]
	s_cmp_eq_u32 s13, 0
	v_bfe_u32 v4, v0, 10, 10
	s_cselect_b32 s4, s8, s12
	s_cselect_b32 s2, s2, s5
	s_wait_kmcnt 0x0
	s_mul_i32 s4, s10, s4
	s_cselect_b32 s16, ttmp9, s6
	s_add_co_i32 s2, s4, s2
	s_add_nc_u64 s[8:9], s[0:1], 24
	s_mul_i32 s2, s2, s15
	s_delay_alu instid0(SALU_CYCLE_1)
	s_add_co_i32 s5, s2, s16
	s_wait_loadcnt 0x0
	v_readfirstlane_b32 s4, v2
	v_bfe_u32 v2, v0, 20, 10
	v_and_b32_e32 v0, 0x3ff, v0
	s_lshr_b32 s12, s4, 16
	s_and_b32 s13, s4, 0xffff
	s_cmp_lt_u32 s16, s15
	v_mad_u32 v3, s5, s12, v2
	s_cselect_b32 s2, 12, 18
	v_or3_b32 v2, v0, v4, v2
	s_add_nc_u64 s[4:5], s[8:9], s[2:3]
	s_load_u16 s2, s[4:5], 0x0
	s_wait_xcnt 0x0
	s_load_b128 s[4:7], s[0:1], 0x0
	s_wait_xcnt 0x0
	s_mul_i32 s0, s11, s12
	s_delay_alu instid0(SALU_CYCLE_1) | instskip(NEXT) | instid1(VALU_DEP_2)
	s_mul_i32 s0, s0, s10
	v_mad_u32 v3, v3, s13, v4
	s_mul_i32 s0, s0, s13
	s_delay_alu instid0(SALU_CYCLE_1) | instskip(SKIP_1) | instid1(VALU_DEP_1)
	s_mul_i32 s0, s0, s15
	s_wait_kmcnt 0x0
	v_mad_u32 v3, v3, s2, v0
	s_mul_i32 s1, s0, s2
	v_cmp_eq_u32_e64 s0, 0, v0
	s_add_co_i32 s2, s1, -1
	v_cmp_eq_u32_e64 s1, 0, v2
	v_mov_b32_e32 v0, -1
	v_cmp_eq_u32_e64 s2, s2, v3
	s_branch .LBB5_4
.LBB5_2:                                ;   in Loop: Header=BB5_4 Depth=1
	s_wait_storecnt 0x0
	global_inv scope:SCOPE_DEV
	s_wait_loadcnt 0x0
.LBB5_3:                                ;   in Loop: Header=BB5_4 Depth=1
	s_or_b32 exec_lo, exec_lo, s12
	s_add_co_i32 s3, s3, 1
	s_add_co_i32 s16, s16, s15
	s_cmp_eq_u32 s3, s14
	s_barrier_signal -1
	s_barrier_wait -1
	s_cbranch_scc1 .LBB5_18
.LBB5_4:                                ; =>This Loop Header: Depth=1
                                        ;     Child Loop BB5_6 Depth 2
                                        ;     Child Loop BB5_17 Depth 2
	s_delay_alu instid0(VALU_DEP_1)
	s_and_saveexec_b32 s17, s2
	s_cbranch_execz .LBB5_7
; %bb.5:                                ;   in Loop: Header=BB5_4 Depth=1
	s_mov_b64 s[10:11], 0
	s_sendmsg_rtn_b64 s[12:13], sendmsg(MSG_RTN_GET_REALTIME)
.LBB5_6:                                ;   Parent Loop BB5_4 Depth=1
                                        ; =>  This Inner Loop Header: Depth=2
	s_sendmsg_rtn_b64 s[18:19], sendmsg(MSG_RTN_GET_REALTIME)
	s_wait_kmcnt 0x0
	v_cmp_gt_i64_e64 s20, s[18:19], s[12:13]
	s_sub_nc_u64 s[12:13], s[18:19], s[12:13]
	s_and_b32 s20, s20, exec_lo
	s_cselect_b32 s13, s13, 0
	s_cselect_b32 s12, s12, 0
	s_delay_alu instid0(SALU_CYCLE_1) | instskip(NEXT) | instid1(SALU_CYCLE_1)
	s_add_nc_u64 s[10:11], s[12:13], s[10:11]
	v_cmp_gt_i64_e64 s12, 0xf4240, s[10:11]
	s_and_b32 vcc_lo, exec_lo, s12
	s_mov_b64 s[12:13], s[18:19]
	s_cbranch_vccnz .LBB5_6
.LBB5_7:                                ;   in Loop: Header=BB5_4 Depth=1
	s_or_b32 exec_lo, exec_lo, s17
	s_and_saveexec_b32 s10, s0
	s_cbranch_execz .LBB5_9
; %bb.8:                                ;   in Loop: Header=BB5_4 Depth=1
	global_atomic_inc_u32 v2, v1, v0, s[4:5] th:TH_ATOMIC_RETURN scope:SCOPE_DEV
	v_mov_b32_e32 v3, s16
	s_wait_loadcnt 0x0
	global_store_b32 v3, v2, s[6:7] scale_offset
.LBB5_9:                                ;   in Loop: Header=BB5_4 Depth=1
	s_wait_xcnt 0x0
	s_or_b32 exec_lo, exec_lo, s10
	s_wait_storecnt 0x0
	s_barrier_signal -1
	s_barrier_wait -1
	s_and_saveexec_b32 s12, s1
	s_cbranch_execz .LBB5_3
; %bb.10:                               ;   in Loop: Header=BB5_4 Depth=1
	global_wb scope:SCOPE_DEV
	s_wait_storecnt 0x0
	s_load_b64 s[10:11], s[8:9], 0x58
	s_mov_b32 s13, exec_lo
	s_mov_b32 s17, exec_lo
	v_mbcnt_lo_u32_b32 v3, s13, 0
                                        ; implicit-def: $vgpr4
	s_wait_kmcnt 0x0
	global_load_b32 v2, v1, s[10:11] offset:40
	s_wait_xcnt 0x0
	v_cmpx_eq_u32_e32 0, v3
	s_cbranch_execz .LBB5_12
; %bb.11:                               ;   in Loop: Header=BB5_4 Depth=1
	s_bcnt1_i32_b32 s13, s13
	s_delay_alu instid0(SALU_CYCLE_1)
	v_mov_b32_e32 v4, s13
	global_atomic_add_u32 v4, v1, v4, s[10:11] offset:32 th:TH_ATOMIC_RETURN scope:SCOPE_DEV
.LBB5_12:                               ;   in Loop: Header=BB5_4 Depth=1
	s_wait_xcnt 0x0
	s_or_b32 exec_lo, exec_lo, s17
	s_wait_loadcnt 0x0
	v_readfirstlane_b32 s13, v4
	s_delay_alu instid0(VALU_DEP_1) | instskip(SKIP_1) | instid1(VALU_DEP_1)
	v_dual_add_nc_u32 v5, -1, v2 :: v_dual_add_nc_u32 v3, s13, v3
	s_mov_b32 s13, exec_lo
	v_and_b32_e32 v4, 0xffff, v3
	s_delay_alu instid0(VALU_DEP_1)
	v_cmpx_eq_u32_e64 v4, v5
	s_cbranch_execz .LBB5_15
; %bb.13:                               ;   in Loop: Header=BB5_4 Depth=1
	s_mov_b32 s17, exec_lo
	s_delay_alu instid0(SALU_CYCLE_1) | instskip(NEXT) | instid1(VALU_DEP_1)
	v_mbcnt_lo_u32_b32 v4, s17, 0
	v_cmp_eq_u32_e32 vcc_lo, 0, v4
	s_and_b32 s18, exec_lo, vcc_lo
	s_delay_alu instid0(SALU_CYCLE_1)
	s_mov_b32 exec_lo, s18
	s_cbranch_execz .LBB5_15
; %bb.14:                               ;   in Loop: Header=BB5_4 Depth=1
	v_sub_nc_u32_e32 v2, 0x10000, v2
	s_bcnt1_i32_b32 s17, s17
	s_delay_alu instid0(VALU_DEP_1) | instid1(SALU_CYCLE_1)
	v_mul_lo_u32 v2, v2, s17
	global_atomic_add_u32 v1, v2, s[10:11] offset:32 scope:SCOPE_DEV
.LBB5_15:                               ;   in Loop: Header=BB5_4 Depth=1
	s_wait_xcnt 0x0
	s_or_b32 exec_lo, exec_lo, s13
	global_load_b32 v4, v1, s[10:11] offset:32 scope:SCOPE_DEV
	v_and_b32_e32 v2, 0xffff0000, v3
	s_wait_loadcnt 0x0
	v_and_b32_e32 v3, 0xffff0000, v4
	s_delay_alu instid0(VALU_DEP_1)
	v_cmp_eq_u32_e32 vcc_lo, v3, v2
	s_wait_xcnt 0x0
	s_and_b32 exec_lo, exec_lo, vcc_lo
	s_cbranch_execz .LBB5_2
; %bb.16:                               ;   in Loop: Header=BB5_4 Depth=1
	s_mov_b32 s13, 0
.LBB5_17:                               ;   Parent Loop BB5_4 Depth=1
                                        ; =>  This Inner Loop Header: Depth=2
	s_sleep 1
	global_load_b32 v3, v1, s[10:11] offset:32 scope:SCOPE_DEV
	s_wait_loadcnt 0x0
	v_and_b32_e32 v3, 0xffff0000, v3
	s_delay_alu instid0(VALU_DEP_1)
	v_cmp_ne_u32_e32 vcc_lo, v3, v2
	s_or_b32 s13, vcc_lo, s13
	s_wait_xcnt 0x0
	s_and_not1_b32 exec_lo, exec_lo, s13
	s_cbranch_execnz .LBB5_17
	s_branch .LBB5_2
.LBB5_18:
	s_endpgm
	.section	.rodata,"a",@progbits
	.p2align	6, 0x0
	.amdhsa_kernel _Z17test_kernel_gfx11PjS_j
		.amdhsa_group_segment_fixed_size 0
		.amdhsa_private_segment_fixed_size 0
		.amdhsa_kernarg_size 280
		.amdhsa_user_sgpr_count 2
		.amdhsa_user_sgpr_dispatch_ptr 0
		.amdhsa_user_sgpr_queue_ptr 0
		.amdhsa_user_sgpr_kernarg_segment_ptr 1
		.amdhsa_user_sgpr_dispatch_id 0
		.amdhsa_user_sgpr_kernarg_preload_length 0
		.amdhsa_user_sgpr_kernarg_preload_offset 0
		.amdhsa_user_sgpr_private_segment_size 0
		.amdhsa_wavefront_size32 1
		.amdhsa_uses_dynamic_stack 0
		.amdhsa_enable_private_segment 0
		.amdhsa_system_sgpr_workgroup_id_x 1
		.amdhsa_system_sgpr_workgroup_id_y 1
		.amdhsa_system_sgpr_workgroup_id_z 1
		.amdhsa_system_sgpr_workgroup_info 0
		.amdhsa_system_vgpr_workitem_id 2
		.amdhsa_next_free_vgpr 6
		.amdhsa_next_free_sgpr 21
		.amdhsa_named_barrier_count 0
		.amdhsa_reserve_vcc 1
		.amdhsa_float_round_mode_32 0
		.amdhsa_float_round_mode_16_64 0
		.amdhsa_float_denorm_mode_32 3
		.amdhsa_float_denorm_mode_16_64 3
		.amdhsa_fp16_overflow 0
		.amdhsa_memory_ordered 1
		.amdhsa_forward_progress 1
		.amdhsa_inst_pref_size 8
		.amdhsa_round_robin_scheduling 0
		.amdhsa_exception_fp_ieee_invalid_op 0
		.amdhsa_exception_fp_denorm_src 0
		.amdhsa_exception_fp_ieee_div_zero 0
		.amdhsa_exception_fp_ieee_overflow 0
		.amdhsa_exception_fp_ieee_underflow 0
		.amdhsa_exception_fp_ieee_inexact 0
		.amdhsa_exception_int_div_zero 0
	.end_amdhsa_kernel
	.text
.Lfunc_end5:
	.size	_Z17test_kernel_gfx11PjS_j, .Lfunc_end5-_Z17test_kernel_gfx11PjS_j
                                        ; -- End function
	.set _Z17test_kernel_gfx11PjS_j.num_vgpr, 6
	.set _Z17test_kernel_gfx11PjS_j.num_agpr, 0
	.set _Z17test_kernel_gfx11PjS_j.numbered_sgpr, 21
	.set _Z17test_kernel_gfx11PjS_j.num_named_barrier, 0
	.set _Z17test_kernel_gfx11PjS_j.private_seg_size, 0
	.set _Z17test_kernel_gfx11PjS_j.uses_vcc, 1
	.set _Z17test_kernel_gfx11PjS_j.uses_flat_scratch, 0
	.set _Z17test_kernel_gfx11PjS_j.has_dyn_sized_stack, 0
	.set _Z17test_kernel_gfx11PjS_j.has_recursion, 0
	.set _Z17test_kernel_gfx11PjS_j.has_indirect_call, 0
	.section	.AMDGPU.csdata,"",@progbits
; Kernel info:
; codeLenInByte = 932
; TotalNumSgprs: 23
; NumVgprs: 6
; ScratchSize: 0
; MemoryBound: 0
; FloatMode: 240
; IeeeMode: 1
; LDSByteSize: 0 bytes/workgroup (compile time only)
; SGPRBlocks: 0
; VGPRBlocks: 0
; NumSGPRsForWavesPerEU: 23
; NumVGPRsForWavesPerEU: 6
; NamedBarCnt: 0
; Occupancy: 16
; WaveLimiterHint : 0
; COMPUTE_PGM_RSRC2:SCRATCH_EN: 0
; COMPUTE_PGM_RSRC2:USER_SGPR: 2
; COMPUTE_PGM_RSRC2:TRAP_HANDLER: 0
; COMPUTE_PGM_RSRC2:TGID_X_EN: 1
; COMPUTE_PGM_RSRC2:TGID_Y_EN: 1
; COMPUTE_PGM_RSRC2:TGID_Z_EN: 1
; COMPUTE_PGM_RSRC2:TIDIG_COMP_CNT: 2
	.text
	.p2alignl 7, 3214868480
	.fill 96, 4, 3214868480
	.section	.AMDGPU.gpr_maximums,"",@progbits
	.set amdgpu.max_num_vgpr, 0
	.set amdgpu.max_num_agpr, 0
	.set amdgpu.max_num_sgpr, 0
	.text
	.type	_ZL2gm.0,@object                ; @_ZL2gm.0
	.local	_ZL2gm.0
	.comm	_ZL2gm.0,1,2
	.type	_ZL2gm.1,@object                ; @_ZL2gm.1
	.local	_ZL2gm.1
	.comm	_ZL2gm.1,1,2
	.type	__hip_cuid_baabf7214133ee41,@object ; @__hip_cuid_baabf7214133ee41
	.section	.bss,"aw",@nobits
	.globl	__hip_cuid_baabf7214133ee41
__hip_cuid_baabf7214133ee41:
	.byte	0                               ; 0x0
	.size	__hip_cuid_baabf7214133ee41, 1

	.ident	"AMD clang version 22.0.0git (https://github.com/RadeonOpenCompute/llvm-project roc-7.2.4 26084 f58b06dce1f9c15707c5f808fd002e18c2accf7e)"
	.section	".note.GNU-stack","",@progbits
	.addrsig
	.addrsig_sym __hip_cuid_baabf7214133ee41
	.amdgpu_metadata
---
amdhsa.kernels:
  - .args:
      - .address_space:  global
        .offset:         0
        .size:           8
        .value_kind:     global_buffer
      - .address_space:  global
        .offset:         8
        .size:           8
        .value_kind:     global_buffer
      - .address_space:  global
        .offset:         16
        .size:           8
        .value_kind:     global_buffer
      - .address_space:  global
        .offset:         24
        .size:           8
        .value_kind:     global_buffer
      - .address_space:  global
        .offset:         32
        .size:           8
        .value_kind:     global_buffer
      - .offset:         40
        .size:           4
        .value_kind:     hidden_block_count_x
      - .offset:         44
        .size:           4
        .value_kind:     hidden_block_count_y
      - .offset:         48
        .size:           4
        .value_kind:     hidden_block_count_z
      - .offset:         52
        .size:           2
        .value_kind:     hidden_group_size_x
      - .offset:         54
        .size:           2
        .value_kind:     hidden_group_size_y
      - .offset:         56
        .size:           2
        .value_kind:     hidden_group_size_z
      - .offset:         58
        .size:           2
        .value_kind:     hidden_remainder_x
      - .offset:         60
        .size:           2
        .value_kind:     hidden_remainder_y
      - .offset:         62
        .size:           2
        .value_kind:     hidden_remainder_z
      - .offset:         80
        .size:           8
        .value_kind:     hidden_global_offset_x
      - .offset:         88
        .size:           8
        .value_kind:     hidden_global_offset_y
      - .offset:         96
        .size:           8
        .value_kind:     hidden_global_offset_z
      - .offset:         104
        .size:           2
        .value_kind:     hidden_grid_dims
      - .offset:         128
        .size:           8
        .value_kind:     hidden_multigrid_sync_arg
    .group_segment_fixed_size: 0
    .kernarg_segment_align: 8
    .kernarg_segment_size: 296
    .language:       OpenCL C
    .language_version:
      - 2
      - 0
    .max_flat_workgroup_size: 1024
    .name:           _ZL25kernel_cg_grid_group_typePiS_S_S_P4dim3
    .private_segment_fixed_size: 0
    .sgpr_count:     21
    .sgpr_spill_count: 0
    .symbol:         _ZL25kernel_cg_grid_group_typePiS_S_S_P4dim3.kd
    .uniform_work_group_size: 1
    .uses_dynamic_stack: false
    .vgpr_count:     8
    .vgpr_spill_count: 0
    .wavefront_size: 32
  - .args:
      - .address_space:  global
        .offset:         0
        .size:           8
        .value_kind:     global_buffer
      - .address_space:  global
        .offset:         8
        .size:           8
        .value_kind:     global_buffer
      - .address_space:  global
        .offset:         16
        .size:           8
        .value_kind:     global_buffer
      - .address_space:  global
        .offset:         24
        .size:           8
        .value_kind:     global_buffer
      - .offset:         32
        .size:           4
        .value_kind:     hidden_block_count_x
      - .offset:         36
        .size:           4
        .value_kind:     hidden_block_count_y
      - .offset:         40
        .size:           4
        .value_kind:     hidden_block_count_z
      - .offset:         44
        .size:           2
        .value_kind:     hidden_group_size_x
      - .offset:         46
        .size:           2
        .value_kind:     hidden_group_size_y
      - .offset:         48
        .size:           2
        .value_kind:     hidden_group_size_z
      - .offset:         50
        .size:           2
        .value_kind:     hidden_remainder_x
      - .offset:         52
        .size:           2
        .value_kind:     hidden_remainder_y
      - .offset:         54
        .size:           2
        .value_kind:     hidden_remainder_z
      - .offset:         72
        .size:           8
        .value_kind:     hidden_global_offset_x
      - .offset:         80
        .size:           8
        .value_kind:     hidden_global_offset_y
      - .offset:         88
        .size:           8
        .value_kind:     hidden_global_offset_z
      - .offset:         96
        .size:           2
        .value_kind:     hidden_grid_dims
      - .offset:         120
        .size:           8
        .value_kind:     hidden_multigrid_sync_arg
    .group_segment_fixed_size: 0
    .kernarg_segment_align: 8
    .kernarg_segment_size: 288
    .language:       OpenCL C
    .language_version:
      - 2
      - 0
    .max_flat_workgroup_size: 1024
    .name:           _ZL39kernel_cg_grid_group_type_via_base_typePiS_S_S_
    .private_segment_fixed_size: 0
    .sgpr_count:     21
    .sgpr_spill_count: 0
    .symbol:         _ZL39kernel_cg_grid_group_type_via_base_typePiS_S_S_.kd
    .uniform_work_group_size: 1
    .uses_dynamic_stack: false
    .vgpr_count:     7
    .vgpr_spill_count: 0
    .wavefront_size: 32
  - .args:
      - .address_space:  global
        .offset:         0
        .size:           8
        .value_kind:     global_buffer
      - .address_space:  global
        .offset:         8
        .size:           8
        .value_kind:     global_buffer
      - .address_space:  global
        .offset:         16
        .size:           8
        .value_kind:     global_buffer
      - .address_space:  global
        .offset:         24
        .size:           8
        .value_kind:     global_buffer
      - .address_space:  global
        .offset:         32
        .size:           8
        .value_kind:     global_buffer
      - .offset:         40
        .size:           4
        .value_kind:     hidden_block_count_x
      - .offset:         44
        .size:           4
        .value_kind:     hidden_block_count_y
      - .offset:         48
        .size:           4
        .value_kind:     hidden_block_count_z
      - .offset:         52
        .size:           2
        .value_kind:     hidden_group_size_x
      - .offset:         54
        .size:           2
        .value_kind:     hidden_group_size_y
      - .offset:         56
        .size:           2
        .value_kind:     hidden_group_size_z
      - .offset:         58
        .size:           2
        .value_kind:     hidden_remainder_x
      - .offset:         60
        .size:           2
        .value_kind:     hidden_remainder_y
      - .offset:         62
        .size:           2
        .value_kind:     hidden_remainder_z
      - .offset:         80
        .size:           8
        .value_kind:     hidden_global_offset_x
      - .offset:         88
        .size:           8
        .value_kind:     hidden_global_offset_y
      - .offset:         96
        .size:           8
        .value_kind:     hidden_global_offset_z
      - .offset:         104
        .size:           2
        .value_kind:     hidden_grid_dims
      - .offset:         128
        .size:           8
        .value_kind:     hidden_multigrid_sync_arg
    .group_segment_fixed_size: 0
    .kernarg_segment_align: 8
    .kernarg_segment_size: 296
    .language:       OpenCL C
    .language_version:
      - 2
      - 0
    .max_flat_workgroup_size: 1024
    .name:           _ZL40kernel_cg_grid_group_type_via_public_apiPiS_S_S_P4dim3
    .private_segment_fixed_size: 0
    .sgpr_count:     21
    .sgpr_spill_count: 0
    .symbol:         _ZL40kernel_cg_grid_group_type_via_public_apiPiS_S_S_P4dim3.kd
    .uniform_work_group_size: 1
    .uses_dynamic_stack: false
    .vgpr_count:     8
    .vgpr_spill_count: 0
    .wavefront_size: 32
  - .args:
      - .address_space:  global
        .offset:         0
        .size:           8
        .value_kind:     global_buffer
      - .address_space:  global
        .offset:         8
        .size:           8
        .value_kind:     global_buffer
      - .offset:         16
        .size:           4
        .value_kind:     by_value
      - .offset:         20
        .size:           4
        .value_kind:     by_value
      - .offset:         24
        .size:           4
        .value_kind:     hidden_block_count_x
      - .offset:         28
        .size:           4
        .value_kind:     hidden_block_count_y
      - .offset:         32
        .size:           4
        .value_kind:     hidden_block_count_z
      - .offset:         36
        .size:           2
        .value_kind:     hidden_group_size_x
      - .offset:         38
        .size:           2
        .value_kind:     hidden_group_size_y
      - .offset:         40
        .size:           2
        .value_kind:     hidden_group_size_z
      - .offset:         42
        .size:           2
        .value_kind:     hidden_remainder_x
      - .offset:         44
        .size:           2
        .value_kind:     hidden_remainder_y
      - .offset:         46
        .size:           2
        .value_kind:     hidden_remainder_z
      - .offset:         64
        .size:           8
        .value_kind:     hidden_global_offset_x
      - .offset:         72
        .size:           8
        .value_kind:     hidden_global_offset_y
      - .offset:         80
        .size:           8
        .value_kind:     hidden_global_offset_z
      - .offset:         88
        .size:           2
        .value_kind:     hidden_grid_dims
      - .offset:         112
        .size:           8
        .value_kind:     hidden_multigrid_sync_arg
    .group_segment_fixed_size: 0
    .kernarg_segment_align: 8
    .kernarg_segment_size: 280
    .language:       OpenCL C
    .language_version:
      - 2
      - 0
    .max_flat_workgroup_size: 1024
    .name:           _ZL11coop_kernelPjS_jj
    .private_segment_fixed_size: 0
    .sgpr_count:     18
    .sgpr_spill_count: 0
    .symbol:         _ZL11coop_kernelPjS_jj.kd
    .uniform_work_group_size: 1
    .uses_dynamic_stack: false
    .vgpr_count:     8
    .vgpr_spill_count: 0
    .wavefront_size: 32
  - .args:
      - .address_space:  global
        .offset:         0
        .size:           8
        .value_kind:     global_buffer
      - .address_space:  global
        .offset:         8
        .size:           8
        .value_kind:     global_buffer
      - .offset:         16
        .size:           4
        .value_kind:     by_value
      - .offset:         24
        .size:           4
        .value_kind:     hidden_block_count_x
      - .offset:         28
        .size:           4
        .value_kind:     hidden_block_count_y
      - .offset:         32
        .size:           4
        .value_kind:     hidden_block_count_z
      - .offset:         36
        .size:           2
        .value_kind:     hidden_group_size_x
      - .offset:         38
        .size:           2
        .value_kind:     hidden_group_size_y
      - .offset:         40
        .size:           2
        .value_kind:     hidden_group_size_z
      - .offset:         42
        .size:           2
        .value_kind:     hidden_remainder_x
      - .offset:         44
        .size:           2
        .value_kind:     hidden_remainder_y
      - .offset:         46
        .size:           2
        .value_kind:     hidden_remainder_z
      - .offset:         64
        .size:           8
        .value_kind:     hidden_global_offset_x
      - .offset:         72
        .size:           8
        .value_kind:     hidden_global_offset_y
      - .offset:         80
        .size:           8
        .value_kind:     hidden_global_offset_z
      - .offset:         88
        .size:           2
        .value_kind:     hidden_grid_dims
      - .offset:         112
        .size:           8
        .value_kind:     hidden_multigrid_sync_arg
    .group_segment_fixed_size: 0
    .kernarg_segment_align: 8
    .kernarg_segment_size: 280
    .language:       OpenCL C
    .language_version:
      - 2
      - 0
    .max_flat_workgroup_size: 1024
    .name:           _ZL11test_kernelPjS_j
    .private_segment_fixed_size: 0
    .sgpr_count:     23
    .sgpr_spill_count: 0
    .symbol:         _ZL11test_kernelPjS_j.kd
    .uniform_work_group_size: 1
    .uses_dynamic_stack: false
    .vgpr_count:     6
    .vgpr_spill_count: 0
    .wavefront_size: 32
  - .args:
      - .address_space:  global
        .offset:         0
        .size:           8
        .value_kind:     global_buffer
      - .address_space:  global
        .offset:         8
        .size:           8
        .value_kind:     global_buffer
      - .offset:         16
        .size:           4
        .value_kind:     by_value
      - .offset:         24
        .size:           4
        .value_kind:     hidden_block_count_x
      - .offset:         28
        .size:           4
        .value_kind:     hidden_block_count_y
      - .offset:         32
        .size:           4
        .value_kind:     hidden_block_count_z
      - .offset:         36
        .size:           2
        .value_kind:     hidden_group_size_x
      - .offset:         38
        .size:           2
        .value_kind:     hidden_group_size_y
      - .offset:         40
        .size:           2
        .value_kind:     hidden_group_size_z
      - .offset:         42
        .size:           2
        .value_kind:     hidden_remainder_x
      - .offset:         44
        .size:           2
        .value_kind:     hidden_remainder_y
      - .offset:         46
        .size:           2
        .value_kind:     hidden_remainder_z
      - .offset:         64
        .size:           8
        .value_kind:     hidden_global_offset_x
      - .offset:         72
        .size:           8
        .value_kind:     hidden_global_offset_y
      - .offset:         80
        .size:           8
        .value_kind:     hidden_global_offset_z
      - .offset:         88
        .size:           2
        .value_kind:     hidden_grid_dims
      - .offset:         112
        .size:           8
        .value_kind:     hidden_multigrid_sync_arg
    .group_segment_fixed_size: 0
    .kernarg_segment_align: 8
    .kernarg_segment_size: 280
    .language:       OpenCL C
    .language_version:
      - 2
      - 0
    .max_flat_workgroup_size: 1024
    .name:           _Z17test_kernel_gfx11PjS_j
    .private_segment_fixed_size: 0
    .sgpr_count:     23
    .sgpr_spill_count: 0
    .symbol:         _Z17test_kernel_gfx11PjS_j.kd
    .uniform_work_group_size: 1
    .uses_dynamic_stack: false
    .vgpr_count:     6
    .vgpr_spill_count: 0
    .wavefront_size: 32
amdhsa.target:   amdgcn-amd-amdhsa--gfx1250
amdhsa.version:
  - 1
  - 2
...

	.end_amdgpu_metadata
